;; amdgpu-corpus repo=ROCm/composable_kernel kind=compiled arch=gfx90a opt=O3
	.text
	.amdgcn_target "amdgcn-amd-amdhsa--gfx90a"
	.amdhsa_code_object_version 6
	.section	.text._ZN2ckL12flush_icacheEv,"axG",@progbits,_ZN2ckL12flush_icacheEv,comdat
	.globl	_ZN2ckL12flush_icacheEv         ; -- Begin function _ZN2ckL12flush_icacheEv
	.p2align	8
	.type	_ZN2ckL12flush_icacheEv,@function
_ZN2ckL12flush_icacheEv:                ; @_ZN2ckL12flush_icacheEv
; %bb.0:
	;;#ASMSTART
	s_icache_inv 
	s_nop 0 
	s_nop 0 
	;; [unrolled: 1-line block ×16, first 2 shown]
	
	;;#ASMEND
	s_endpgm
	.section	.rodata,"a",@progbits
	.p2align	6, 0x0
	.amdhsa_kernel _ZN2ckL12flush_icacheEv
		.amdhsa_group_segment_fixed_size 0
		.amdhsa_private_segment_fixed_size 0
		.amdhsa_kernarg_size 0
		.amdhsa_user_sgpr_count 4
		.amdhsa_user_sgpr_private_segment_buffer 1
		.amdhsa_user_sgpr_dispatch_ptr 0
		.amdhsa_user_sgpr_queue_ptr 0
		.amdhsa_user_sgpr_kernarg_segment_ptr 0
		.amdhsa_user_sgpr_dispatch_id 0
		.amdhsa_user_sgpr_flat_scratch_init 0
		.amdhsa_user_sgpr_kernarg_preload_length 0
		.amdhsa_user_sgpr_kernarg_preload_offset 0
		.amdhsa_user_sgpr_private_segment_size 0
		.amdhsa_uses_dynamic_stack 0
		.amdhsa_system_sgpr_private_segment_wavefront_offset 0
		.amdhsa_system_sgpr_workgroup_id_x 1
		.amdhsa_system_sgpr_workgroup_id_y 0
		.amdhsa_system_sgpr_workgroup_id_z 0
		.amdhsa_system_sgpr_workgroup_info 0
		.amdhsa_system_vgpr_workitem_id 0
		.amdhsa_next_free_vgpr 1
		.amdhsa_next_free_sgpr 0
		.amdhsa_accum_offset 4
		.amdhsa_reserve_vcc 0
		.amdhsa_reserve_flat_scratch 0
		.amdhsa_float_round_mode_32 0
		.amdhsa_float_round_mode_16_64 0
		.amdhsa_float_denorm_mode_32 3
		.amdhsa_float_denorm_mode_16_64 3
		.amdhsa_dx10_clamp 1
		.amdhsa_ieee_mode 1
		.amdhsa_fp16_overflow 0
		.amdhsa_tg_split 0
		.amdhsa_exception_fp_ieee_invalid_op 0
		.amdhsa_exception_fp_denorm_src 0
		.amdhsa_exception_fp_ieee_div_zero 0
		.amdhsa_exception_fp_ieee_overflow 0
		.amdhsa_exception_fp_ieee_underflow 0
		.amdhsa_exception_fp_ieee_inexact 0
		.amdhsa_exception_int_div_zero 0
	.end_amdhsa_kernel
	.section	.text._ZN2ckL12flush_icacheEv,"axG",@progbits,_ZN2ckL12flush_icacheEv,comdat
.Lfunc_end0:
	.size	_ZN2ckL12flush_icacheEv, .Lfunc_end0-_ZN2ckL12flush_icacheEv
                                        ; -- End function
	.section	.AMDGPU.csdata,"",@progbits
; Kernel info:
; codeLenInByte = 140
; NumSgprs: 4
; NumVgprs: 0
; NumAgprs: 0
; TotalNumVgprs: 0
; ScratchSize: 0
; MemoryBound: 0
; FloatMode: 240
; IeeeMode: 1
; LDSByteSize: 0 bytes/workgroup (compile time only)
; SGPRBlocks: 0
; VGPRBlocks: 0
; NumSGPRsForWavesPerEU: 4
; NumVGPRsForWavesPerEU: 1
; AccumOffset: 4
; Occupancy: 8
; WaveLimiterHint : 0
; COMPUTE_PGM_RSRC2:SCRATCH_EN: 0
; COMPUTE_PGM_RSRC2:USER_SGPR: 4
; COMPUTE_PGM_RSRC2:TRAP_HANDLER: 0
; COMPUTE_PGM_RSRC2:TGID_X_EN: 1
; COMPUTE_PGM_RSRC2:TGID_Y_EN: 0
; COMPUTE_PGM_RSRC2:TGID_Z_EN: 0
; COMPUTE_PGM_RSRC2:TIDIG_COMP_CNT: 0
; COMPUTE_PGM_RSRC3_GFX90A:ACCUM_OFFSET: 0
; COMPUTE_PGM_RSRC3_GFX90A:TG_SPLIT: 0
	.section	.text._ZN2ck19kernel_gemm_dl_v1r3INS_28GridwiseGemmDl_km_kn_mn_v1r3ILi256EDF16_fDF16_LNS_25InMemoryDataOperationEnumE0ENS_16TensorDescriptorINS_5TupleIJNS_5EmbedINS4_IJiiEEENS4_IJNS_17integral_constantIiLi1EEEiEEELb0EEENS_7UnMergeINS4_IJiNS7_IiLi2EEEEEELb0EEENS_11PassThroughIiEEEEENS4_IJNS_8SequenceIJLi0EEEENSI_IJLi2EEEENSI_IJLi1EEEEEEENS4_IJNSI_IJLi1ELi2EEEENSI_IJLi3ELi4EEEENSI_IJLi5EEEEEEENSI_IJLi3ELi5ELi4EEEElEENS3_INS4_IJNS5_IS6_NS4_IJiS8_EEELb0EEESE_SG_EEENS4_IJSJ_SL_SK_EEESQ_SR_lEENS3_INS4_IJSU_SG_SG_EEESW_NS4_IJSN_NSI_IJLi3EEEENSI_IJLi4EEEEEEESO_lEELi128ELi128ELi16ELi2ELi4ELi4ELi1ENSI_IJLi8ELi2EEEES13_NSI_IJLi2ELi1ELi4ELi2EEEENSI_IJLi8ELi1ELi32ELi1EEEENSI_IJLi0ELi3ELi1ELi2EEEES16_NSI_IJLi1ELi1ELi4ELi1EEEES16_NSI_IJLi1ELi1ELi4ELi2EEEES14_S15_S16_S16_S17_S16_S18_NSI_IJLi0ELi1ELi2ELi3ELi4ELi5EEEELi5ELi4EEEDF16_DF16_NS3_INS4_IJSA_SE_SG_SG_NSB_INS4_IJiNS7_IiLi128EEEEEELb0EEENSF_ISC_EEEEENS4_IJSJ_SK_SL_SZ_SP_S10_EEENS4_IJSN_SO_SP_NSI_IJLi6EEEENSI_IJLi7ELi8EEEENSI_IJLi9EEEEEEENSI_IJLi6ELi7ELi8ELi9EEEElEENS3_INS4_IJSU_SE_SG_SG_S1D_S1E_EEENS4_IJSJ_SL_SK_SZ_SP_S10_EEES1K_S1L_lEENS3_INS4_IJSU_SG_SG_NSB_INS4_IJiSC_NS7_IiLi64EEEEEELb0EEES1S_EEENS4_IJSJ_SL_SK_SZ_S10_EEENS4_IJSN_SZ_S10_NSI_IJLi5ELi6ELi7EEEENSI_IJLi8ELi9ELi10EEEEEEENSI_IJLi5ELi6ELi7ELi8ELi9ELi10EEEElEENS_31BlockToCTileMap_M00_N00_M01_N01ILi128ELi128ES12_Lb0EEELb1ELb1EEEvPKT0_S24_PT1_T2_T3_T4_T5_,"axG",@progbits,_ZN2ck19kernel_gemm_dl_v1r3INS_28GridwiseGemmDl_km_kn_mn_v1r3ILi256EDF16_fDF16_LNS_25InMemoryDataOperationEnumE0ENS_16TensorDescriptorINS_5TupleIJNS_5EmbedINS4_IJiiEEENS4_IJNS_17integral_constantIiLi1EEEiEEELb0EEENS_7UnMergeINS4_IJiNS7_IiLi2EEEEEELb0EEENS_11PassThroughIiEEEEENS4_IJNS_8SequenceIJLi0EEEENSI_IJLi2EEEENSI_IJLi1EEEEEEENS4_IJNSI_IJLi1ELi2EEEENSI_IJLi3ELi4EEEENSI_IJLi5EEEEEEENSI_IJLi3ELi5ELi4EEEElEENS3_INS4_IJNS5_IS6_NS4_IJiS8_EEELb0EEESE_SG_EEENS4_IJSJ_SL_SK_EEESQ_SR_lEENS3_INS4_IJSU_SG_SG_EEESW_NS4_IJSN_NSI_IJLi3EEEENSI_IJLi4EEEEEEESO_lEELi128ELi128ELi16ELi2ELi4ELi4ELi1ENSI_IJLi8ELi2EEEES13_NSI_IJLi2ELi1ELi4ELi2EEEENSI_IJLi8ELi1ELi32ELi1EEEENSI_IJLi0ELi3ELi1ELi2EEEES16_NSI_IJLi1ELi1ELi4ELi1EEEES16_NSI_IJLi1ELi1ELi4ELi2EEEES14_S15_S16_S16_S17_S16_S18_NSI_IJLi0ELi1ELi2ELi3ELi4ELi5EEEELi5ELi4EEEDF16_DF16_NS3_INS4_IJSA_SE_SG_SG_NSB_INS4_IJiNS7_IiLi128EEEEEELb0EEENSF_ISC_EEEEENS4_IJSJ_SK_SL_SZ_SP_S10_EEENS4_IJSN_SO_SP_NSI_IJLi6EEEENSI_IJLi7ELi8EEEENSI_IJLi9EEEEEEENSI_IJLi6ELi7ELi8ELi9EEEElEENS3_INS4_IJSU_SE_SG_SG_S1D_S1E_EEENS4_IJSJ_SL_SK_SZ_SP_S10_EEES1K_S1L_lEENS3_INS4_IJSU_SG_SG_NSB_INS4_IJiSC_NS7_IiLi64EEEEEELb0EEES1S_EEENS4_IJSJ_SL_SK_SZ_S10_EEENS4_IJSN_SZ_S10_NSI_IJLi5ELi6ELi7EEEENSI_IJLi8ELi9ELi10EEEEEEENSI_IJLi5ELi6ELi7ELi8ELi9ELi10EEEElEENS_31BlockToCTileMap_M00_N00_M01_N01ILi128ELi128ES12_Lb0EEELb1ELb1EEEvPKT0_S24_PT1_T2_T3_T4_T5_,comdat
	.protected	_ZN2ck19kernel_gemm_dl_v1r3INS_28GridwiseGemmDl_km_kn_mn_v1r3ILi256EDF16_fDF16_LNS_25InMemoryDataOperationEnumE0ENS_16TensorDescriptorINS_5TupleIJNS_5EmbedINS4_IJiiEEENS4_IJNS_17integral_constantIiLi1EEEiEEELb0EEENS_7UnMergeINS4_IJiNS7_IiLi2EEEEEELb0EEENS_11PassThroughIiEEEEENS4_IJNS_8SequenceIJLi0EEEENSI_IJLi2EEEENSI_IJLi1EEEEEEENS4_IJNSI_IJLi1ELi2EEEENSI_IJLi3ELi4EEEENSI_IJLi5EEEEEEENSI_IJLi3ELi5ELi4EEEElEENS3_INS4_IJNS5_IS6_NS4_IJiS8_EEELb0EEESE_SG_EEENS4_IJSJ_SL_SK_EEESQ_SR_lEENS3_INS4_IJSU_SG_SG_EEESW_NS4_IJSN_NSI_IJLi3EEEENSI_IJLi4EEEEEEESO_lEELi128ELi128ELi16ELi2ELi4ELi4ELi1ENSI_IJLi8ELi2EEEES13_NSI_IJLi2ELi1ELi4ELi2EEEENSI_IJLi8ELi1ELi32ELi1EEEENSI_IJLi0ELi3ELi1ELi2EEEES16_NSI_IJLi1ELi1ELi4ELi1EEEES16_NSI_IJLi1ELi1ELi4ELi2EEEES14_S15_S16_S16_S17_S16_S18_NSI_IJLi0ELi1ELi2ELi3ELi4ELi5EEEELi5ELi4EEEDF16_DF16_NS3_INS4_IJSA_SE_SG_SG_NSB_INS4_IJiNS7_IiLi128EEEEEELb0EEENSF_ISC_EEEEENS4_IJSJ_SK_SL_SZ_SP_S10_EEENS4_IJSN_SO_SP_NSI_IJLi6EEEENSI_IJLi7ELi8EEEENSI_IJLi9EEEEEEENSI_IJLi6ELi7ELi8ELi9EEEElEENS3_INS4_IJSU_SE_SG_SG_S1D_S1E_EEENS4_IJSJ_SL_SK_SZ_SP_S10_EEES1K_S1L_lEENS3_INS4_IJSU_SG_SG_NSB_INS4_IJiSC_NS7_IiLi64EEEEEELb0EEES1S_EEENS4_IJSJ_SL_SK_SZ_S10_EEENS4_IJSN_SZ_S10_NSI_IJLi5ELi6ELi7EEEENSI_IJLi8ELi9ELi10EEEEEEENSI_IJLi5ELi6ELi7ELi8ELi9ELi10EEEElEENS_31BlockToCTileMap_M00_N00_M01_N01ILi128ELi128ES12_Lb0EEELb1ELb1EEEvPKT0_S24_PT1_T2_T3_T4_T5_ ; -- Begin function _ZN2ck19kernel_gemm_dl_v1r3INS_28GridwiseGemmDl_km_kn_mn_v1r3ILi256EDF16_fDF16_LNS_25InMemoryDataOperationEnumE0ENS_16TensorDescriptorINS_5TupleIJNS_5EmbedINS4_IJiiEEENS4_IJNS_17integral_constantIiLi1EEEiEEELb0EEENS_7UnMergeINS4_IJiNS7_IiLi2EEEEEELb0EEENS_11PassThroughIiEEEEENS4_IJNS_8SequenceIJLi0EEEENSI_IJLi2EEEENSI_IJLi1EEEEEEENS4_IJNSI_IJLi1ELi2EEEENSI_IJLi3ELi4EEEENSI_IJLi5EEEEEEENSI_IJLi3ELi5ELi4EEEElEENS3_INS4_IJNS5_IS6_NS4_IJiS8_EEELb0EEESE_SG_EEENS4_IJSJ_SL_SK_EEESQ_SR_lEENS3_INS4_IJSU_SG_SG_EEESW_NS4_IJSN_NSI_IJLi3EEEENSI_IJLi4EEEEEEESO_lEELi128ELi128ELi16ELi2ELi4ELi4ELi1ENSI_IJLi8ELi2EEEES13_NSI_IJLi2ELi1ELi4ELi2EEEENSI_IJLi8ELi1ELi32ELi1EEEENSI_IJLi0ELi3ELi1ELi2EEEES16_NSI_IJLi1ELi1ELi4ELi1EEEES16_NSI_IJLi1ELi1ELi4ELi2EEEES14_S15_S16_S16_S17_S16_S18_NSI_IJLi0ELi1ELi2ELi3ELi4ELi5EEEELi5ELi4EEEDF16_DF16_NS3_INS4_IJSA_SE_SG_SG_NSB_INS4_IJiNS7_IiLi128EEEEEELb0EEENSF_ISC_EEEEENS4_IJSJ_SK_SL_SZ_SP_S10_EEENS4_IJSN_SO_SP_NSI_IJLi6EEEENSI_IJLi7ELi8EEEENSI_IJLi9EEEEEEENSI_IJLi6ELi7ELi8ELi9EEEElEENS3_INS4_IJSU_SE_SG_SG_S1D_S1E_EEENS4_IJSJ_SL_SK_SZ_SP_S10_EEES1K_S1L_lEENS3_INS4_IJSU_SG_SG_NSB_INS4_IJiSC_NS7_IiLi64EEEEEELb0EEES1S_EEENS4_IJSJ_SL_SK_SZ_S10_EEENS4_IJSN_SZ_S10_NSI_IJLi5ELi6ELi7EEEENSI_IJLi8ELi9ELi10EEEEEEENSI_IJLi5ELi6ELi7ELi8ELi9ELi10EEEElEENS_31BlockToCTileMap_M00_N00_M01_N01ILi128ELi128ES12_Lb0EEELb1ELb1EEEvPKT0_S24_PT1_T2_T3_T4_T5_
	.globl	_ZN2ck19kernel_gemm_dl_v1r3INS_28GridwiseGemmDl_km_kn_mn_v1r3ILi256EDF16_fDF16_LNS_25InMemoryDataOperationEnumE0ENS_16TensorDescriptorINS_5TupleIJNS_5EmbedINS4_IJiiEEENS4_IJNS_17integral_constantIiLi1EEEiEEELb0EEENS_7UnMergeINS4_IJiNS7_IiLi2EEEEEELb0EEENS_11PassThroughIiEEEEENS4_IJNS_8SequenceIJLi0EEEENSI_IJLi2EEEENSI_IJLi1EEEEEEENS4_IJNSI_IJLi1ELi2EEEENSI_IJLi3ELi4EEEENSI_IJLi5EEEEEEENSI_IJLi3ELi5ELi4EEEElEENS3_INS4_IJNS5_IS6_NS4_IJiS8_EEELb0EEESE_SG_EEENS4_IJSJ_SL_SK_EEESQ_SR_lEENS3_INS4_IJSU_SG_SG_EEESW_NS4_IJSN_NSI_IJLi3EEEENSI_IJLi4EEEEEEESO_lEELi128ELi128ELi16ELi2ELi4ELi4ELi1ENSI_IJLi8ELi2EEEES13_NSI_IJLi2ELi1ELi4ELi2EEEENSI_IJLi8ELi1ELi32ELi1EEEENSI_IJLi0ELi3ELi1ELi2EEEES16_NSI_IJLi1ELi1ELi4ELi1EEEES16_NSI_IJLi1ELi1ELi4ELi2EEEES14_S15_S16_S16_S17_S16_S18_NSI_IJLi0ELi1ELi2ELi3ELi4ELi5EEEELi5ELi4EEEDF16_DF16_NS3_INS4_IJSA_SE_SG_SG_NSB_INS4_IJiNS7_IiLi128EEEEEELb0EEENSF_ISC_EEEEENS4_IJSJ_SK_SL_SZ_SP_S10_EEENS4_IJSN_SO_SP_NSI_IJLi6EEEENSI_IJLi7ELi8EEEENSI_IJLi9EEEEEEENSI_IJLi6ELi7ELi8ELi9EEEElEENS3_INS4_IJSU_SE_SG_SG_S1D_S1E_EEENS4_IJSJ_SL_SK_SZ_SP_S10_EEES1K_S1L_lEENS3_INS4_IJSU_SG_SG_NSB_INS4_IJiSC_NS7_IiLi64EEEEEELb0EEES1S_EEENS4_IJSJ_SL_SK_SZ_S10_EEENS4_IJSN_SZ_S10_NSI_IJLi5ELi6ELi7EEEENSI_IJLi8ELi9ELi10EEEEEEENSI_IJLi5ELi6ELi7ELi8ELi9ELi10EEEElEENS_31BlockToCTileMap_M00_N00_M01_N01ILi128ELi128ES12_Lb0EEELb1ELb1EEEvPKT0_S24_PT1_T2_T3_T4_T5_
	.p2align	8
	.type	_ZN2ck19kernel_gemm_dl_v1r3INS_28GridwiseGemmDl_km_kn_mn_v1r3ILi256EDF16_fDF16_LNS_25InMemoryDataOperationEnumE0ENS_16TensorDescriptorINS_5TupleIJNS_5EmbedINS4_IJiiEEENS4_IJNS_17integral_constantIiLi1EEEiEEELb0EEENS_7UnMergeINS4_IJiNS7_IiLi2EEEEEELb0EEENS_11PassThroughIiEEEEENS4_IJNS_8SequenceIJLi0EEEENSI_IJLi2EEEENSI_IJLi1EEEEEEENS4_IJNSI_IJLi1ELi2EEEENSI_IJLi3ELi4EEEENSI_IJLi5EEEEEEENSI_IJLi3ELi5ELi4EEEElEENS3_INS4_IJNS5_IS6_NS4_IJiS8_EEELb0EEESE_SG_EEENS4_IJSJ_SL_SK_EEESQ_SR_lEENS3_INS4_IJSU_SG_SG_EEESW_NS4_IJSN_NSI_IJLi3EEEENSI_IJLi4EEEEEEESO_lEELi128ELi128ELi16ELi2ELi4ELi4ELi1ENSI_IJLi8ELi2EEEES13_NSI_IJLi2ELi1ELi4ELi2EEEENSI_IJLi8ELi1ELi32ELi1EEEENSI_IJLi0ELi3ELi1ELi2EEEES16_NSI_IJLi1ELi1ELi4ELi1EEEES16_NSI_IJLi1ELi1ELi4ELi2EEEES14_S15_S16_S16_S17_S16_S18_NSI_IJLi0ELi1ELi2ELi3ELi4ELi5EEEELi5ELi4EEEDF16_DF16_NS3_INS4_IJSA_SE_SG_SG_NSB_INS4_IJiNS7_IiLi128EEEEEELb0EEENSF_ISC_EEEEENS4_IJSJ_SK_SL_SZ_SP_S10_EEENS4_IJSN_SO_SP_NSI_IJLi6EEEENSI_IJLi7ELi8EEEENSI_IJLi9EEEEEEENSI_IJLi6ELi7ELi8ELi9EEEElEENS3_INS4_IJSU_SE_SG_SG_S1D_S1E_EEENS4_IJSJ_SL_SK_SZ_SP_S10_EEES1K_S1L_lEENS3_INS4_IJSU_SG_SG_NSB_INS4_IJiSC_NS7_IiLi64EEEEEELb0EEES1S_EEENS4_IJSJ_SL_SK_SZ_S10_EEENS4_IJSN_SZ_S10_NSI_IJLi5ELi6ELi7EEEENSI_IJLi8ELi9ELi10EEEEEEENSI_IJLi5ELi6ELi7ELi8ELi9ELi10EEEElEENS_31BlockToCTileMap_M00_N00_M01_N01ILi128ELi128ES12_Lb0EEELb1ELb1EEEvPKT0_S24_PT1_T2_T3_T4_T5_,@function
_ZN2ck19kernel_gemm_dl_v1r3INS_28GridwiseGemmDl_km_kn_mn_v1r3ILi256EDF16_fDF16_LNS_25InMemoryDataOperationEnumE0ENS_16TensorDescriptorINS_5TupleIJNS_5EmbedINS4_IJiiEEENS4_IJNS_17integral_constantIiLi1EEEiEEELb0EEENS_7UnMergeINS4_IJiNS7_IiLi2EEEEEELb0EEENS_11PassThroughIiEEEEENS4_IJNS_8SequenceIJLi0EEEENSI_IJLi2EEEENSI_IJLi1EEEEEEENS4_IJNSI_IJLi1ELi2EEEENSI_IJLi3ELi4EEEENSI_IJLi5EEEEEEENSI_IJLi3ELi5ELi4EEEElEENS3_INS4_IJNS5_IS6_NS4_IJiS8_EEELb0EEESE_SG_EEENS4_IJSJ_SL_SK_EEESQ_SR_lEENS3_INS4_IJSU_SG_SG_EEESW_NS4_IJSN_NSI_IJLi3EEEENSI_IJLi4EEEEEEESO_lEELi128ELi128ELi16ELi2ELi4ELi4ELi1ENSI_IJLi8ELi2EEEES13_NSI_IJLi2ELi1ELi4ELi2EEEENSI_IJLi8ELi1ELi32ELi1EEEENSI_IJLi0ELi3ELi1ELi2EEEES16_NSI_IJLi1ELi1ELi4ELi1EEEES16_NSI_IJLi1ELi1ELi4ELi2EEEES14_S15_S16_S16_S17_S16_S18_NSI_IJLi0ELi1ELi2ELi3ELi4ELi5EEEELi5ELi4EEEDF16_DF16_NS3_INS4_IJSA_SE_SG_SG_NSB_INS4_IJiNS7_IiLi128EEEEEELb0EEENSF_ISC_EEEEENS4_IJSJ_SK_SL_SZ_SP_S10_EEENS4_IJSN_SO_SP_NSI_IJLi6EEEENSI_IJLi7ELi8EEEENSI_IJLi9EEEEEEENSI_IJLi6ELi7ELi8ELi9EEEElEENS3_INS4_IJSU_SE_SG_SG_S1D_S1E_EEENS4_IJSJ_SL_SK_SZ_SP_S10_EEES1K_S1L_lEENS3_INS4_IJSU_SG_SG_NSB_INS4_IJiSC_NS7_IiLi64EEEEEELb0EEES1S_EEENS4_IJSJ_SL_SK_SZ_S10_EEENS4_IJSN_SZ_S10_NSI_IJLi5ELi6ELi7EEEENSI_IJLi8ELi9ELi10EEEEEEENSI_IJLi5ELi6ELi7ELi8ELi9ELi10EEEElEENS_31BlockToCTileMap_M00_N00_M01_N01ILi128ELi128ES12_Lb0EEELb1ELb1EEEvPKT0_S24_PT1_T2_T3_T4_T5_: ; @_ZN2ck19kernel_gemm_dl_v1r3INS_28GridwiseGemmDl_km_kn_mn_v1r3ILi256EDF16_fDF16_LNS_25InMemoryDataOperationEnumE0ENS_16TensorDescriptorINS_5TupleIJNS_5EmbedINS4_IJiiEEENS4_IJNS_17integral_constantIiLi1EEEiEEELb0EEENS_7UnMergeINS4_IJiNS7_IiLi2EEEEEELb0EEENS_11PassThroughIiEEEEENS4_IJNS_8SequenceIJLi0EEEENSI_IJLi2EEEENSI_IJLi1EEEEEEENS4_IJNSI_IJLi1ELi2EEEENSI_IJLi3ELi4EEEENSI_IJLi5EEEEEEENSI_IJLi3ELi5ELi4EEEElEENS3_INS4_IJNS5_IS6_NS4_IJiS8_EEELb0EEESE_SG_EEENS4_IJSJ_SL_SK_EEESQ_SR_lEENS3_INS4_IJSU_SG_SG_EEESW_NS4_IJSN_NSI_IJLi3EEEENSI_IJLi4EEEEEEESO_lEELi128ELi128ELi16ELi2ELi4ELi4ELi1ENSI_IJLi8ELi2EEEES13_NSI_IJLi2ELi1ELi4ELi2EEEENSI_IJLi8ELi1ELi32ELi1EEEENSI_IJLi0ELi3ELi1ELi2EEEES16_NSI_IJLi1ELi1ELi4ELi1EEEES16_NSI_IJLi1ELi1ELi4ELi2EEEES14_S15_S16_S16_S17_S16_S18_NSI_IJLi0ELi1ELi2ELi3ELi4ELi5EEEELi5ELi4EEEDF16_DF16_NS3_INS4_IJSA_SE_SG_SG_NSB_INS4_IJiNS7_IiLi128EEEEEELb0EEENSF_ISC_EEEEENS4_IJSJ_SK_SL_SZ_SP_S10_EEENS4_IJSN_SO_SP_NSI_IJLi6EEEENSI_IJLi7ELi8EEEENSI_IJLi9EEEEEEENSI_IJLi6ELi7ELi8ELi9EEEElEENS3_INS4_IJSU_SE_SG_SG_S1D_S1E_EEENS4_IJSJ_SL_SK_SZ_SP_S10_EEES1K_S1L_lEENS3_INS4_IJSU_SG_SG_NSB_INS4_IJiSC_NS7_IiLi64EEEEEELb0EEES1S_EEENS4_IJSJ_SL_SK_SZ_S10_EEENS4_IJSN_SZ_S10_NSI_IJLi5ELi6ELi7EEEENSI_IJLi8ELi9ELi10EEEEEEENSI_IJLi5ELi6ELi7ELi8ELi9ELi10EEEElEENS_31BlockToCTileMap_M00_N00_M01_N01ILi128ELi128ES12_Lb0EEELb1ELb1EEEvPKT0_S24_PT1_T2_T3_T4_T5_
; %bb.0:
	s_load_dwordx4 s[12:15], s[4:5], 0x0
	s_load_dwordx2 s[0:1], s[4:5], 0x10
	s_load_dword s7, s[4:5], 0xfc
	s_load_dwordx4 s[8:11], s[4:5], 0x108
	s_load_dwordx4 s[20:23], s[4:5], 0x11c
	;; [unrolled: 1-line block ×3, first 2 shown]
	s_load_dword s19, s[4:5], 0x24
	s_load_dword s28, s[4:5], 0x38
	;; [unrolled: 1-line block ×6, first 2 shown]
	s_load_dwordx2 s[2:3], s[4:5], 0xd0
	s_waitcnt lgkmcnt(0)
	s_load_dword s3, s[4:5], 0xec
                                        ; kill: killed $sgpr4_sgpr5
	s_mul_hi_u32 s4, s23, s6
	s_add_i32 s4, s6, s4
	s_lshr_b32 s4, s4, s27
	s_mul_i32 s5, s4, s11
	s_sub_i32 s5, s6, s5
	s_mul_hi_u32 s6, s4, s22
	s_add_i32 s6, s4, s6
	s_lshr_b32 s6, s6, s26
	s_mul_i32 s10, s6, s10
	s_sub_i32 s4, s4, s10
	;; [unrolled: 5-line block ×4, first 2 shown]
	s_mul_i32 s6, s6, s7
	s_waitcnt lgkmcnt(0)
	s_mul_i32 s8, s8, s3
	s_add_i32 s24, s5, s6
	s_add_i32 s36, s4, s8
	v_lshrrev_b32_e32 v1, 4, v0
	v_lshlrev_b32_e32 v10, 2, v0
	v_and_b32_e32 v1, 14, v1
	v_and_b32_e32 v26, 0x7c, v10
	s_lshl_b32 s17, s36, 7
	s_lshl_b32 s3, s24, 7
	v_or_b32_e32 v2, s17, v26
	v_lshlrev_b32_e32 v5, 1, v1
	v_or_b32_e32 v4, s3, v26
	v_mad_u64_u32 v[2:3], s[4:5], s19, v5, v[2:3]
	v_mad_u64_u32 v[4:5], s[4:5], s18, v5, v[4:5]
	s_mov_b32 s7, 0x20000
	s_mov_b32 s4, s12
	s_lshl_b32 s10, s30, 1
	s_mov_b32 s8, s14
	s_mov_b32 s9, s15
	;; [unrolled: 1-line block ×3, first 2 shown]
	v_lshlrev_b32_e32 v12, 1, v4
	v_add_u32_e32 v13, s18, v4
	s_lshl_b32 s12, s18, 1
	s_mov_b32 s5, s13
	v_lshlrev_b32_e32 v3, 1, v2
	v_add_u32_e32 v5, s19, v2
	s_lshl_b32 s13, s19, 1
	v_lshlrev_b32_e32 v14, 1, v13
	buffer_load_dwordx2 v[6:7], v12, s[8:11], 0 offen
	buffer_load_dwordx2 v[8:9], v14, s[8:11], 0 offen
	v_add_lshl_u32 v16, v13, s12, 1
	s_lshl_b32 s6, s29, 1
	v_lshlrev_b32_e32 v11, 1, v5
	v_add_lshl_u32 v4, s12, v4, 1
	buffer_load_dwordx2 v[18:19], v16, s[8:11], 0 offen
	buffer_load_dwordx2 v[20:21], v4, s[8:11], 0 offen
	;; [unrolled: 1-line block ×4, first 2 shown]
	v_add_lshl_u32 v3, v5, s13, 1
	v_add_lshl_u32 v2, s13, v2, 1
	buffer_load_dwordx2 v[22:23], v3, s[4:7], 0 offen
	buffer_load_dwordx2 v[24:25], v2, s[4:7], 0 offen
	v_lshrrev_b32_e32 v27, 5, v0
	v_lshlrev_b32_e32 v2, 1, v0
	v_lshlrev_b32_e32 v3, 6, v27
	v_and_b32_e32 v4, 0x1f8, v2
	v_and_b32_e32 v2, 0x1fc, v2
	s_mov_b32 s15, 0x7060302
	s_mov_b32 s20, 0x5040100
	v_sub_u32_e32 v3, v4, v3
	v_sub_u32_e32 v2, v2, v4
	v_and_or_b32 v49, v10, 4, v3
	v_lshl_add_u32 v58, v27, 3, v2
	v_and_b32_e32 v0, 31, v0
	s_sub_i32 s21, s28, 32
	s_lshl_b32 s31, s24, 8
	s_lshl_b32 s24, s18, 7
	s_mul_i32 s25, s18, 0x86
	s_mul_i32 s26, s18, 0x82
	;; [unrolled: 1-line block ×5, first 2 shown]
	s_lshl_b32 s33, s19, 6
	s_lshl_b32 s42, s36, 8
	s_mul_i32 s36, s19, 0x86
	s_mul_i32 s37, s19, 0x82
	;; [unrolled: 1-line block ×5, first 2 shown]
	s_mov_b32 s14, 0
	v_lshlrev_b32_e32 v94, 2, v58
	v_lshlrev_b32_e32 v95, 2, v49
	s_add_i32 s25, s31, s25
	s_add_i32 s26, s31, s26
	;; [unrolled: 1-line block ×11, first 2 shown]
	v_mov_b32_e32 v28, 0
	v_mov_b32_e32 v57, 0
	;; [unrolled: 1-line block ×30, first 2 shown]
	s_waitcnt vmcnt(6)
	v_perm_b32 v3, v8, v6, s15
	v_perm_b32 v2, v8, v6, s20
	;; [unrolled: 1-line block ×4, first 2 shown]
	s_waitcnt vmcnt(4)
	v_perm_b32 v7, v18, v20, s15
	v_perm_b32 v6, v18, v20, s20
	v_lshlrev_b32_e32 v18, 2, v26
	s_waitcnt vmcnt(2)
	v_perm_b32 v11, v14, v12, s15
	v_perm_b32 v10, v14, v12, s20
	;; [unrolled: 1-line block ×4, first 2 shown]
	v_lshl_or_b32 v96, v1, 9, v18
	s_waitcnt vmcnt(0)
	v_perm_b32 v17, v23, v25, s15
	v_perm_b32 v15, v22, v24, s15
	;; [unrolled: 1-line block ×4, first 2 shown]
	ds_write_b128 v96, v[10:13]
	ds_write_b128 v96, v[14:17] offset:512
	ds_write_b128 v96, v[2:5] offset:16384
	v_mad_u64_u32 v[2:3], s[22:23], s18, v27, v[0:1]
	v_mad_u64_u32 v[0:1], s[34:35], s19, v27, v[0:1]
	s_lshl_b32 s22, s18, 6
	s_mul_i32 s23, s18, 0x84
	s_mul_i32 s34, s19, 0x84
	s_lshl_b32 s35, s19, 7
	v_perm_b32 v9, v19, v21, s15
	v_perm_b32 v8, v19, v21, s20
	v_or_b32_e32 v100, 0x4000, v96
	v_or_b32_e32 v98, 0x2000, v96
	;; [unrolled: 1-line block ×3, first 2 shown]
	v_lshl_add_u32 v99, v2, 2, s3
	v_lshlrev_b32_e32 v101, 3, v2
	s_add_i32 s23, s31, s23
	s_add_i32 s31, s31, s22
	v_lshl_add_u32 v102, v0, 2, s17
	v_lshlrev_b32_e32 v103, 3, v0
	s_add_i32 s34, s42, s34
	s_add_i32 s38, s42, s35
	;; [unrolled: 1-line block ×3, first 2 shown]
	v_mov_b32_e32 v92, 0
	v_mov_b32_e32 v91, 0
	;; [unrolled: 1-line block ×34, first 2 shown]
	ds_write_b128 v96, v[6:9] offset:16896
.LBB1_1:                                ; =>This Inner Loop Header: Depth=1
	v_add_u32_e32 v0, s42, v103
	buffer_load_dwordx2 v[2:3], v0, s[4:7], 0 offen
	v_add_u32_e32 v0, s41, v103
	buffer_load_dwordx2 v[4:5], v0, s[4:7], 0 offen
	s_add_i32 s14, s14, 32
	s_add_i32 s41, s41, s35
	;; [unrolled: 1-line block ×3, first 2 shown]
	v_add_u32_e32 v99, s22, v99
	v_add_u32_e32 v102, s33, v102
	s_waitcnt vmcnt(0)
	v_perm_b32 v1, v4, v2, s15
	v_perm_b32 v0, v4, v2, s20
	v_add_u32_e32 v4, s40, v103
	buffer_load_dwordx2 v[6:7], v4, s[4:7], 0 offen
	v_add_u32_e32 v4, s39, v103
	buffer_load_dwordx2 v[8:9], v4, s[4:7], 0 offen
	v_perm_b32 v2, v5, v3, s20
	v_perm_b32 v3, v5, v3, s15
	s_add_i32 s39, s39, s35
	s_add_i32 s40, s40, s35
	s_waitcnt vmcnt(0)
	v_perm_b32 v5, v6, v8, s15
	v_perm_b32 v4, v6, v8, s20
	v_add_u32_e32 v8, s31, v101
	buffer_load_dwordx2 v[10:11], v8, s[8:11], 0 offen
	v_add_u32_e32 v8, s30, v101
	buffer_load_dwordx2 v[12:13], v8, s[8:11], 0 offen
	v_perm_b32 v6, v7, v9, s20
	v_perm_b32 v7, v7, v9, s15
	s_add_i32 s30, s30, s24
	s_add_i32 s31, s31, s24
	s_waitcnt vmcnt(0)
	v_perm_b32 v9, v12, v10, s15
	v_perm_b32 v8, v12, v10, s20
	v_add_u32_e32 v12, s29, v101
	buffer_load_dwordx2 v[14:15], v12, s[8:11], 0 offen
	v_add_u32_e32 v12, s28, v101
	buffer_load_dwordx2 v[16:17], v12, s[8:11], 0 offen
	v_perm_b32 v10, v13, v11, s20
	v_perm_b32 v11, v13, v11, s15
	s_waitcnt lgkmcnt(0)
	s_barrier
	s_add_i32 s28, s28, s24
	s_add_i32 s29, s29, s24
	s_waitcnt vmcnt(0)
	v_perm_b32 v13, v14, v16, s15
	v_perm_b32 v12, v14, v16, s20
	;; [unrolled: 1-line block ×4, first 2 shown]
	ds_read_b128 v[16:19], v94
	ds_read_b128 v[20:23], v95 offset:16384
	ds_read_b128 v[24:27], v95 offset:16640
	;; [unrolled: 1-line block ×3, first 2 shown]
	s_waitcnt lgkmcnt(2)
	v_dot2c_f32_f16_e32 v93, v16, v20
	v_dot2c_f32_f16_e32 v91, v16, v21
	;; [unrolled: 1-line block ×16, first 2 shown]
	s_waitcnt lgkmcnt(1)
	v_dot2c_f32_f16_e32 v89, v16, v24
	v_dot2c_f32_f16_e32 v87, v16, v25
	;; [unrolled: 1-line block ×16, first 2 shown]
	ds_read_b128 v[16:19], v94 offset:512
	s_waitcnt lgkmcnt(1)
	v_dot2c_f32_f16_e32 v28, v104, v20
	v_dot2c_f32_f16_e32 v29, v104, v21
	;; [unrolled: 1-line block ×16, first 2 shown]
	ds_read_b128 v[20:23], v95 offset:16896
	v_dot2c_f32_f16_e32 v33, v104, v24
	v_dot2c_f32_f16_e32 v32, v104, v25
	;; [unrolled: 1-line block ×16, first 2 shown]
	ds_read_b128 v[24:27], v95 offset:17152
	ds_read_b128 v[104:107], v94 offset:768
	s_waitcnt lgkmcnt(2)
	v_dot2c_f32_f16_e32 v93, v16, v20
	v_dot2c_f32_f16_e32 v91, v16, v21
	;; [unrolled: 1-line block ×16, first 2 shown]
	s_waitcnt lgkmcnt(1)
	v_dot2c_f32_f16_e32 v89, v16, v24
	v_dot2c_f32_f16_e32 v87, v16, v25
	;; [unrolled: 1-line block ×16, first 2 shown]
	ds_read_b128 v[16:19], v94 offset:1024
	s_waitcnt lgkmcnt(1)
	v_dot2c_f32_f16_e32 v28, v104, v20
	v_dot2c_f32_f16_e32 v29, v104, v21
	v_dot2c_f32_f16_e32 v30, v104, v22
	v_dot2c_f32_f16_e32 v31, v104, v23
	v_dot2c_f32_f16_e32 v41, v105, v20
	v_dot2c_f32_f16_e32 v40, v105, v21
	v_dot2c_f32_f16_e32 v42, v105, v22
	v_dot2c_f32_f16_e32 v43, v105, v23
	v_dot2c_f32_f16_e32 v45, v106, v20
	v_dot2c_f32_f16_e32 v44, v106, v21
	v_dot2c_f32_f16_e32 v46, v106, v22
	v_dot2c_f32_f16_e32 v47, v106, v23
	v_dot2c_f32_f16_e32 v71, v107, v20
	v_dot2c_f32_f16_e32 v70, v107, v21
	v_dot2c_f32_f16_e32 v72, v107, v22
	v_dot2c_f32_f16_e32 v73, v107, v23
	ds_read_b128 v[20:23], v95 offset:17408
	v_dot2c_f32_f16_e32 v33, v104, v24
	v_dot2c_f32_f16_e32 v32, v104, v25
	;; [unrolled: 1-line block ×16, first 2 shown]
	ds_read_b128 v[24:27], v95 offset:17664
	ds_read_b128 v[104:107], v94 offset:1280
	s_waitcnt lgkmcnt(2)
	v_dot2c_f32_f16_e32 v93, v16, v20
	v_dot2c_f32_f16_e32 v91, v16, v21
	;; [unrolled: 1-line block ×16, first 2 shown]
	s_waitcnt lgkmcnt(1)
	v_dot2c_f32_f16_e32 v89, v16, v24
	v_dot2c_f32_f16_e32 v87, v16, v25
	;; [unrolled: 1-line block ×16, first 2 shown]
	ds_read_b128 v[16:19], v94 offset:1536
	s_waitcnt lgkmcnt(1)
	v_dot2c_f32_f16_e32 v28, v104, v20
	v_dot2c_f32_f16_e32 v29, v104, v21
	;; [unrolled: 1-line block ×16, first 2 shown]
	ds_read_b128 v[20:23], v95 offset:17920
	v_dot2c_f32_f16_e32 v33, v104, v24
	v_dot2c_f32_f16_e32 v32, v104, v25
	;; [unrolled: 1-line block ×16, first 2 shown]
	ds_read_b128 v[24:27], v95 offset:18176
	ds_read_b128 v[104:107], v94 offset:1792
	s_waitcnt lgkmcnt(2)
	v_dot2c_f32_f16_e32 v93, v16, v20
	v_dot2c_f32_f16_e32 v91, v16, v21
	;; [unrolled: 1-line block ×16, first 2 shown]
	s_waitcnt lgkmcnt(1)
	v_dot2c_f32_f16_e32 v89, v16, v24
	v_dot2c_f32_f16_e32 v87, v16, v25
	;; [unrolled: 1-line block ×16, first 2 shown]
	ds_read_b128 v[16:19], v94 offset:2048
	s_waitcnt lgkmcnt(1)
	v_dot2c_f32_f16_e32 v28, v104, v20
	v_dot2c_f32_f16_e32 v29, v104, v21
	;; [unrolled: 1-line block ×16, first 2 shown]
	ds_read_b128 v[20:23], v95 offset:18432
	v_dot2c_f32_f16_e32 v33, v104, v24
	v_dot2c_f32_f16_e32 v32, v104, v25
	;; [unrolled: 1-line block ×16, first 2 shown]
	ds_read_b128 v[24:27], v95 offset:18688
	ds_read_b128 v[104:107], v94 offset:2304
	s_waitcnt lgkmcnt(2)
	v_dot2c_f32_f16_e32 v93, v16, v20
	v_dot2c_f32_f16_e32 v91, v16, v21
	v_dot2c_f32_f16_e32 v92, v16, v22
	v_dot2c_f32_f16_e32 v90, v16, v23
	v_dot2c_f32_f16_e32 v81, v17, v20
	v_dot2c_f32_f16_e32 v79, v17, v21
	v_dot2c_f32_f16_e32 v80, v17, v22
	v_dot2c_f32_f16_e32 v78, v17, v23
	v_dot2c_f32_f16_e32 v77, v18, v20
	v_dot2c_f32_f16_e32 v75, v18, v21
	v_dot2c_f32_f16_e32 v76, v18, v22
	v_dot2c_f32_f16_e32 v74, v18, v23
	v_dot2c_f32_f16_e32 v53, v19, v20
	v_dot2c_f32_f16_e32 v50, v19, v21
	v_dot2c_f32_f16_e32 v51, v19, v22
	v_dot2c_f32_f16_e32 v48, v19, v23
	s_waitcnt lgkmcnt(1)
	v_dot2c_f32_f16_e32 v89, v16, v24
	v_dot2c_f32_f16_e32 v87, v16, v25
	;; [unrolled: 1-line block ×16, first 2 shown]
	ds_read_b128 v[16:19], v94 offset:2560
	s_waitcnt lgkmcnt(1)
	v_dot2c_f32_f16_e32 v28, v104, v20
	v_dot2c_f32_f16_e32 v29, v104, v21
	;; [unrolled: 1-line block ×16, first 2 shown]
	ds_read_b128 v[20:23], v95 offset:18944
	v_dot2c_f32_f16_e32 v33, v104, v24
	v_dot2c_f32_f16_e32 v32, v104, v25
	;; [unrolled: 1-line block ×16, first 2 shown]
	ds_read_b128 v[24:27], v95 offset:19200
	ds_read_b128 v[104:107], v94 offset:2816
	s_waitcnt lgkmcnt(2)
	v_dot2c_f32_f16_e32 v93, v16, v20
	v_dot2c_f32_f16_e32 v91, v16, v21
	;; [unrolled: 1-line block ×16, first 2 shown]
	s_waitcnt lgkmcnt(1)
	v_dot2c_f32_f16_e32 v89, v16, v24
	v_dot2c_f32_f16_e32 v87, v16, v25
	;; [unrolled: 1-line block ×16, first 2 shown]
	ds_read_b128 v[16:19], v94 offset:3072
	s_waitcnt lgkmcnt(1)
	v_dot2c_f32_f16_e32 v28, v104, v20
	v_dot2c_f32_f16_e32 v29, v104, v21
	;; [unrolled: 1-line block ×16, first 2 shown]
	ds_read_b128 v[20:23], v95 offset:19456
	v_dot2c_f32_f16_e32 v33, v104, v24
	v_dot2c_f32_f16_e32 v32, v104, v25
	v_dot2c_f32_f16_e32 v34, v104, v26
	v_dot2c_f32_f16_e32 v35, v104, v27
	v_dot2c_f32_f16_e32 v37, v105, v24
	v_dot2c_f32_f16_e32 v36, v105, v25
	v_dot2c_f32_f16_e32 v38, v105, v26
	v_dot2c_f32_f16_e32 v39, v105, v27
	v_dot2c_f32_f16_e32 v54, v106, v24
	v_dot2c_f32_f16_e32 v52, v106, v25
	v_dot2c_f32_f16_e32 v55, v106, v26
	v_dot2c_f32_f16_e32 v56, v106, v27
	v_dot2c_f32_f16_e32 v63, v107, v24
	v_dot2c_f32_f16_e32 v62, v107, v25
	v_dot2c_f32_f16_e32 v64, v107, v26
	v_dot2c_f32_f16_e32 v65, v107, v27
	ds_read_b128 v[24:27], v95 offset:19712
	ds_read_b128 v[104:107], v94 offset:3328
	s_waitcnt lgkmcnt(2)
	v_dot2c_f32_f16_e32 v93, v16, v20
	v_dot2c_f32_f16_e32 v91, v16, v21
	;; [unrolled: 1-line block ×16, first 2 shown]
	s_waitcnt lgkmcnt(1)
	v_dot2c_f32_f16_e32 v89, v16, v24
	v_dot2c_f32_f16_e32 v87, v16, v25
	;; [unrolled: 1-line block ×16, first 2 shown]
	ds_read_b128 v[16:19], v94 offset:3584
	s_waitcnt lgkmcnt(1)
	v_dot2c_f32_f16_e32 v28, v104, v20
	v_dot2c_f32_f16_e32 v29, v104, v21
	;; [unrolled: 1-line block ×16, first 2 shown]
	ds_read_b128 v[20:23], v95 offset:19968
	v_dot2c_f32_f16_e32 v33, v104, v24
	v_dot2c_f32_f16_e32 v32, v104, v25
	;; [unrolled: 1-line block ×16, first 2 shown]
	ds_read_b128 v[24:27], v95 offset:20224
	ds_read_b128 v[104:107], v94 offset:3840
	s_waitcnt lgkmcnt(2)
	v_dot2c_f32_f16_e32 v93, v16, v20
	v_dot2c_f32_f16_e32 v91, v16, v21
	;; [unrolled: 1-line block ×16, first 2 shown]
	s_waitcnt lgkmcnt(1)
	v_dot2c_f32_f16_e32 v89, v16, v24
	v_dot2c_f32_f16_e32 v87, v16, v25
	;; [unrolled: 1-line block ×16, first 2 shown]
	ds_read_b128 v[16:19], v94 offset:4096
	s_waitcnt lgkmcnt(1)
	v_dot2c_f32_f16_e32 v28, v104, v20
	v_dot2c_f32_f16_e32 v29, v104, v21
	;; [unrolled: 1-line block ×16, first 2 shown]
	ds_read_b128 v[20:23], v95 offset:20480
	v_dot2c_f32_f16_e32 v33, v104, v24
	v_dot2c_f32_f16_e32 v32, v104, v25
	;; [unrolled: 1-line block ×16, first 2 shown]
	ds_read_b128 v[24:27], v95 offset:20736
	ds_read_b128 v[104:107], v94 offset:4352
	s_waitcnt lgkmcnt(2)
	v_dot2c_f32_f16_e32 v93, v16, v20
	v_dot2c_f32_f16_e32 v91, v16, v21
	v_dot2c_f32_f16_e32 v92, v16, v22
	v_dot2c_f32_f16_e32 v90, v16, v23
	v_dot2c_f32_f16_e32 v81, v17, v20
	v_dot2c_f32_f16_e32 v79, v17, v21
	v_dot2c_f32_f16_e32 v80, v17, v22
	v_dot2c_f32_f16_e32 v78, v17, v23
	v_dot2c_f32_f16_e32 v77, v18, v20
	v_dot2c_f32_f16_e32 v75, v18, v21
	v_dot2c_f32_f16_e32 v76, v18, v22
	v_dot2c_f32_f16_e32 v74, v18, v23
	v_dot2c_f32_f16_e32 v53, v19, v20
	v_dot2c_f32_f16_e32 v50, v19, v21
	v_dot2c_f32_f16_e32 v51, v19, v22
	v_dot2c_f32_f16_e32 v48, v19, v23
	s_waitcnt lgkmcnt(1)
	v_dot2c_f32_f16_e32 v89, v16, v24
	v_dot2c_f32_f16_e32 v87, v16, v25
	;; [unrolled: 1-line block ×16, first 2 shown]
	ds_read_b128 v[16:19], v94 offset:4608
	s_waitcnt lgkmcnt(1)
	v_dot2c_f32_f16_e32 v28, v104, v20
	v_dot2c_f32_f16_e32 v29, v104, v21
	;; [unrolled: 1-line block ×16, first 2 shown]
	ds_read_b128 v[20:23], v95 offset:20992
	v_dot2c_f32_f16_e32 v33, v104, v24
	v_dot2c_f32_f16_e32 v32, v104, v25
	;; [unrolled: 1-line block ×16, first 2 shown]
	ds_read_b128 v[24:27], v95 offset:21248
	ds_read_b128 v[104:107], v94 offset:4864
	s_waitcnt lgkmcnt(2)
	v_dot2c_f32_f16_e32 v93, v16, v20
	v_dot2c_f32_f16_e32 v91, v16, v21
	;; [unrolled: 1-line block ×16, first 2 shown]
	s_waitcnt lgkmcnt(1)
	v_dot2c_f32_f16_e32 v89, v16, v24
	v_dot2c_f32_f16_e32 v87, v16, v25
	v_dot2c_f32_f16_e32 v88, v16, v26
	v_dot2c_f32_f16_e32 v86, v16, v27
	v_dot2c_f32_f16_e32 v85, v17, v24
	v_dot2c_f32_f16_e32 v83, v17, v25
	v_dot2c_f32_f16_e32 v84, v17, v26
	v_dot2c_f32_f16_e32 v82, v17, v27
	v_dot2c_f32_f16_e32 v69, v18, v24
	v_dot2c_f32_f16_e32 v67, v18, v25
	v_dot2c_f32_f16_e32 v68, v18, v26
	v_dot2c_f32_f16_e32 v66, v18, v27
	v_dot2c_f32_f16_e32 v61, v19, v24
	v_dot2c_f32_f16_e32 v59, v19, v25
	v_dot2c_f32_f16_e32 v60, v19, v26
	v_dot2c_f32_f16_e32 v57, v19, v27
	ds_read_b128 v[16:19], v94 offset:5120
	s_waitcnt lgkmcnt(1)
	v_dot2c_f32_f16_e32 v28, v104, v20
	v_dot2c_f32_f16_e32 v29, v104, v21
	;; [unrolled: 1-line block ×16, first 2 shown]
	ds_read_b128 v[20:23], v95 offset:21504
	v_dot2c_f32_f16_e32 v33, v104, v24
	v_dot2c_f32_f16_e32 v32, v104, v25
	;; [unrolled: 1-line block ×16, first 2 shown]
	ds_read_b128 v[24:27], v95 offset:21760
	ds_read_b128 v[104:107], v94 offset:5376
	s_waitcnt lgkmcnt(2)
	v_dot2c_f32_f16_e32 v93, v16, v20
	v_dot2c_f32_f16_e32 v91, v16, v21
	;; [unrolled: 1-line block ×16, first 2 shown]
	s_waitcnt lgkmcnt(1)
	v_dot2c_f32_f16_e32 v89, v16, v24
	v_dot2c_f32_f16_e32 v87, v16, v25
	;; [unrolled: 1-line block ×16, first 2 shown]
	ds_read_b128 v[16:19], v94 offset:5632
	s_waitcnt lgkmcnt(1)
	v_dot2c_f32_f16_e32 v28, v104, v20
	v_dot2c_f32_f16_e32 v29, v104, v21
	;; [unrolled: 1-line block ×16, first 2 shown]
	ds_read_b128 v[20:23], v95 offset:22016
	v_dot2c_f32_f16_e32 v33, v104, v24
	v_dot2c_f32_f16_e32 v32, v104, v25
	;; [unrolled: 1-line block ×16, first 2 shown]
	ds_read_b128 v[24:27], v95 offset:22272
	ds_read_b128 v[104:107], v94 offset:5888
	s_waitcnt lgkmcnt(2)
	v_dot2c_f32_f16_e32 v93, v16, v20
	v_dot2c_f32_f16_e32 v91, v16, v21
	;; [unrolled: 1-line block ×16, first 2 shown]
	s_waitcnt lgkmcnt(1)
	v_dot2c_f32_f16_e32 v89, v16, v24
	v_dot2c_f32_f16_e32 v87, v16, v25
	;; [unrolled: 1-line block ×16, first 2 shown]
	ds_read_b128 v[16:19], v94 offset:6144
	s_waitcnt lgkmcnt(1)
	v_dot2c_f32_f16_e32 v28, v104, v20
	v_dot2c_f32_f16_e32 v29, v104, v21
	;; [unrolled: 1-line block ×16, first 2 shown]
	ds_read_b128 v[20:23], v95 offset:22528
	v_dot2c_f32_f16_e32 v33, v104, v24
	v_dot2c_f32_f16_e32 v32, v104, v25
	;; [unrolled: 1-line block ×16, first 2 shown]
	ds_read_b128 v[24:27], v95 offset:22784
	ds_read_b128 v[104:107], v94 offset:6400
	s_waitcnt lgkmcnt(2)
	v_dot2c_f32_f16_e32 v93, v16, v20
	v_dot2c_f32_f16_e32 v91, v16, v21
	;; [unrolled: 1-line block ×16, first 2 shown]
	s_waitcnt lgkmcnt(1)
	v_dot2c_f32_f16_e32 v89, v16, v24
	v_dot2c_f32_f16_e32 v87, v16, v25
	;; [unrolled: 1-line block ×16, first 2 shown]
	ds_read_b128 v[16:19], v94 offset:6656
	s_waitcnt lgkmcnt(1)
	v_dot2c_f32_f16_e32 v28, v104, v20
	v_dot2c_f32_f16_e32 v29, v104, v21
	;; [unrolled: 1-line block ×16, first 2 shown]
	ds_read_b128 v[20:23], v95 offset:23040
	v_dot2c_f32_f16_e32 v33, v104, v24
	v_dot2c_f32_f16_e32 v32, v104, v25
	;; [unrolled: 1-line block ×16, first 2 shown]
	ds_read_b128 v[24:27], v95 offset:23296
	ds_read_b128 v[104:107], v94 offset:6912
	s_waitcnt lgkmcnt(2)
	v_dot2c_f32_f16_e32 v93, v16, v20
	v_dot2c_f32_f16_e32 v91, v16, v21
	;; [unrolled: 1-line block ×16, first 2 shown]
	s_waitcnt lgkmcnt(1)
	v_dot2c_f32_f16_e32 v89, v16, v24
	v_dot2c_f32_f16_e32 v87, v16, v25
	v_dot2c_f32_f16_e32 v88, v16, v26
	v_dot2c_f32_f16_e32 v86, v16, v27
	v_dot2c_f32_f16_e32 v85, v17, v24
	v_dot2c_f32_f16_e32 v83, v17, v25
	v_dot2c_f32_f16_e32 v84, v17, v26
	v_dot2c_f32_f16_e32 v82, v17, v27
	v_dot2c_f32_f16_e32 v69, v18, v24
	v_dot2c_f32_f16_e32 v67, v18, v25
	v_dot2c_f32_f16_e32 v68, v18, v26
	v_dot2c_f32_f16_e32 v66, v18, v27
	v_dot2c_f32_f16_e32 v61, v19, v24
	v_dot2c_f32_f16_e32 v59, v19, v25
	v_dot2c_f32_f16_e32 v60, v19, v26
	v_dot2c_f32_f16_e32 v57, v19, v27
	ds_read_b128 v[16:19], v94 offset:7168
	s_waitcnt lgkmcnt(1)
	v_dot2c_f32_f16_e32 v28, v104, v20
	v_dot2c_f32_f16_e32 v29, v104, v21
	;; [unrolled: 1-line block ×16, first 2 shown]
	ds_read_b128 v[20:23], v95 offset:23552
	v_dot2c_f32_f16_e32 v33, v104, v24
	v_dot2c_f32_f16_e32 v32, v104, v25
	v_dot2c_f32_f16_e32 v34, v104, v26
	v_dot2c_f32_f16_e32 v35, v104, v27
	v_dot2c_f32_f16_e32 v37, v105, v24
	v_dot2c_f32_f16_e32 v36, v105, v25
	v_dot2c_f32_f16_e32 v38, v105, v26
	v_dot2c_f32_f16_e32 v39, v105, v27
	v_dot2c_f32_f16_e32 v54, v106, v24
	v_dot2c_f32_f16_e32 v52, v106, v25
	v_dot2c_f32_f16_e32 v55, v106, v26
	v_dot2c_f32_f16_e32 v56, v106, v27
	v_dot2c_f32_f16_e32 v63, v107, v24
	v_dot2c_f32_f16_e32 v62, v107, v25
	v_dot2c_f32_f16_e32 v64, v107, v26
	v_dot2c_f32_f16_e32 v65, v107, v27
	ds_read_b128 v[24:27], v95 offset:23808
	ds_read_b128 v[104:107], v94 offset:7424
	s_waitcnt lgkmcnt(2)
	v_dot2c_f32_f16_e32 v93, v16, v20
	v_dot2c_f32_f16_e32 v91, v16, v21
	;; [unrolled: 1-line block ×16, first 2 shown]
	s_waitcnt lgkmcnt(1)
	v_dot2c_f32_f16_e32 v89, v16, v24
	v_dot2c_f32_f16_e32 v87, v16, v25
	;; [unrolled: 1-line block ×16, first 2 shown]
	ds_read_b128 v[16:19], v94 offset:7680
	s_waitcnt lgkmcnt(1)
	v_dot2c_f32_f16_e32 v28, v104, v20
	v_dot2c_f32_f16_e32 v29, v104, v21
	v_dot2c_f32_f16_e32 v30, v104, v22
	v_dot2c_f32_f16_e32 v31, v104, v23
	v_dot2c_f32_f16_e32 v41, v105, v20
	v_dot2c_f32_f16_e32 v40, v105, v21
	v_dot2c_f32_f16_e32 v42, v105, v22
	v_dot2c_f32_f16_e32 v43, v105, v23
	v_dot2c_f32_f16_e32 v45, v106, v20
	v_dot2c_f32_f16_e32 v44, v106, v21
	v_dot2c_f32_f16_e32 v46, v106, v22
	v_dot2c_f32_f16_e32 v47, v106, v23
	v_dot2c_f32_f16_e32 v71, v107, v20
	v_dot2c_f32_f16_e32 v70, v107, v21
	v_dot2c_f32_f16_e32 v72, v107, v22
	v_dot2c_f32_f16_e32 v73, v107, v23
	ds_read_b128 v[20:23], v95 offset:24064
	v_dot2c_f32_f16_e32 v33, v104, v24
	v_dot2c_f32_f16_e32 v32, v104, v25
	v_dot2c_f32_f16_e32 v34, v104, v26
	v_dot2c_f32_f16_e32 v35, v104, v27
	v_dot2c_f32_f16_e32 v37, v105, v24
	v_dot2c_f32_f16_e32 v36, v105, v25
	v_dot2c_f32_f16_e32 v38, v105, v26
	v_dot2c_f32_f16_e32 v39, v105, v27
	v_dot2c_f32_f16_e32 v54, v106, v24
	v_dot2c_f32_f16_e32 v52, v106, v25
	v_dot2c_f32_f16_e32 v55, v106, v26
	v_dot2c_f32_f16_e32 v56, v106, v27
	v_dot2c_f32_f16_e32 v63, v107, v24
	v_dot2c_f32_f16_e32 v62, v107, v25
	v_dot2c_f32_f16_e32 v64, v107, v26
	v_dot2c_f32_f16_e32 v65, v107, v27
	ds_read_b128 v[24:27], v95 offset:24320
	ds_read_b128 v[104:107], v94 offset:7936
	ds_write_b128 v96, v[0:3] offset:8192
	ds_write_b128 v98, v[4:7] offset:512
	;; [unrolled: 1-line block ×4, first 2 shown]
	v_add_u32_e32 v0, s38, v103
	buffer_load_dwordx2 v[2:3], v0, s[4:7], 0 offen
	v_add_u32_e32 v0, s37, v103
	buffer_load_dwordx2 v[4:5], v0, s[4:7], 0 offen
	s_waitcnt lgkmcnt(6)
	v_dot2c_f32_f16_e32 v93, v16, v20
	v_dot2c_f32_f16_e32 v91, v16, v21
	;; [unrolled: 1-line block ×8, first 2 shown]
	s_waitcnt lgkmcnt(5)
	v_dot2c_f32_f16_e32 v89, v16, v24
	v_dot2c_f32_f16_e32 v87, v16, v25
	;; [unrolled: 1-line block ×24, first 2 shown]
	s_waitcnt lgkmcnt(4)
	v_dot2c_f32_f16_e32 v28, v104, v20
	v_dot2c_f32_f16_e32 v29, v104, v21
	;; [unrolled: 1-line block ×32, first 2 shown]
	s_add_i32 s37, s37, s35
	s_add_i32 s38, s38, s35
	s_waitcnt vmcnt(0)
	v_perm_b32 v1, v4, v2, s15
	v_perm_b32 v0, v4, v2, s20
	v_add_u32_e32 v4, s36, v103
	buffer_load_dwordx2 v[6:7], v4, s[4:7], 0 offen
	v_add_u32_e32 v4, s34, v103
	buffer_load_dwordx2 v[8:9], v4, s[4:7], 0 offen
	v_perm_b32 v2, v5, v3, s20
	v_perm_b32 v3, v5, v3, s15
	s_add_i32 s34, s34, s35
	s_add_i32 s36, s36, s35
	s_waitcnt vmcnt(0)
	v_perm_b32 v5, v6, v8, s15
	v_perm_b32 v4, v6, v8, s20
	v_add_u32_e32 v8, s27, v101
	buffer_load_dwordx2 v[10:11], v8, s[8:11], 0 offen
	v_add_u32_e32 v8, s26, v101
	buffer_load_dwordx2 v[12:13], v8, s[8:11], 0 offen
	v_perm_b32 v6, v7, v9, s20
	v_perm_b32 v7, v7, v9, s15
	;; [unrolled: 11-line block ×3, first 2 shown]
	s_waitcnt lgkmcnt(0)
	s_barrier
	s_add_i32 s23, s23, s24
	s_add_i32 s25, s25, s24
	s_cmp_lt_i32 s14, s21
	s_waitcnt vmcnt(0)
	v_perm_b32 v13, v14, v16, s15
	v_perm_b32 v12, v14, v16, s20
	;; [unrolled: 1-line block ×4, first 2 shown]
	ds_read_b128 v[16:19], v94 offset:8192
	ds_read_b128 v[20:23], v95 offset:24576
	;; [unrolled: 1-line block ×4, first 2 shown]
	s_waitcnt lgkmcnt(2)
	v_dot2c_f32_f16_e32 v93, v16, v20
	v_dot2c_f32_f16_e32 v91, v16, v21
	;; [unrolled: 1-line block ×16, first 2 shown]
	s_waitcnt lgkmcnt(1)
	v_dot2c_f32_f16_e32 v89, v16, v24
	v_dot2c_f32_f16_e32 v87, v16, v25
	;; [unrolled: 1-line block ×16, first 2 shown]
	ds_read_b128 v[16:19], v94 offset:8704
	s_waitcnt lgkmcnt(1)
	v_dot2c_f32_f16_e32 v28, v104, v20
	v_dot2c_f32_f16_e32 v29, v104, v21
	;; [unrolled: 1-line block ×16, first 2 shown]
	ds_read_b128 v[20:23], v95 offset:25088
	v_dot2c_f32_f16_e32 v33, v104, v24
	v_dot2c_f32_f16_e32 v32, v104, v25
	v_dot2c_f32_f16_e32 v34, v104, v26
	v_dot2c_f32_f16_e32 v35, v104, v27
	v_dot2c_f32_f16_e32 v37, v105, v24
	v_dot2c_f32_f16_e32 v36, v105, v25
	v_dot2c_f32_f16_e32 v38, v105, v26
	v_dot2c_f32_f16_e32 v39, v105, v27
	v_dot2c_f32_f16_e32 v54, v106, v24
	v_dot2c_f32_f16_e32 v52, v106, v25
	v_dot2c_f32_f16_e32 v55, v106, v26
	v_dot2c_f32_f16_e32 v56, v106, v27
	v_dot2c_f32_f16_e32 v63, v107, v24
	v_dot2c_f32_f16_e32 v62, v107, v25
	v_dot2c_f32_f16_e32 v64, v107, v26
	v_dot2c_f32_f16_e32 v65, v107, v27
	ds_read_b128 v[24:27], v95 offset:25344
	ds_read_b128 v[104:107], v94 offset:8960
	s_waitcnt lgkmcnt(2)
	v_dot2c_f32_f16_e32 v93, v16, v20
	v_dot2c_f32_f16_e32 v91, v16, v21
	;; [unrolled: 1-line block ×16, first 2 shown]
	s_waitcnt lgkmcnt(1)
	v_dot2c_f32_f16_e32 v89, v16, v24
	v_dot2c_f32_f16_e32 v87, v16, v25
	;; [unrolled: 1-line block ×16, first 2 shown]
	ds_read_b128 v[16:19], v94 offset:9216
	s_waitcnt lgkmcnt(1)
	v_dot2c_f32_f16_e32 v28, v104, v20
	v_dot2c_f32_f16_e32 v29, v104, v21
	;; [unrolled: 1-line block ×16, first 2 shown]
	ds_read_b128 v[20:23], v95 offset:25600
	v_dot2c_f32_f16_e32 v33, v104, v24
	v_dot2c_f32_f16_e32 v32, v104, v25
	;; [unrolled: 1-line block ×16, first 2 shown]
	ds_read_b128 v[24:27], v95 offset:25856
	ds_read_b128 v[104:107], v94 offset:9472
	s_waitcnt lgkmcnt(2)
	v_dot2c_f32_f16_e32 v93, v16, v20
	v_dot2c_f32_f16_e32 v91, v16, v21
	;; [unrolled: 1-line block ×16, first 2 shown]
	s_waitcnt lgkmcnt(1)
	v_dot2c_f32_f16_e32 v89, v16, v24
	v_dot2c_f32_f16_e32 v87, v16, v25
	;; [unrolled: 1-line block ×16, first 2 shown]
	ds_read_b128 v[16:19], v94 offset:9728
	s_waitcnt lgkmcnt(1)
	v_dot2c_f32_f16_e32 v28, v104, v20
	v_dot2c_f32_f16_e32 v29, v104, v21
	;; [unrolled: 1-line block ×16, first 2 shown]
	ds_read_b128 v[20:23], v95 offset:26112
	v_dot2c_f32_f16_e32 v33, v104, v24
	v_dot2c_f32_f16_e32 v32, v104, v25
	;; [unrolled: 1-line block ×16, first 2 shown]
	ds_read_b128 v[24:27], v95 offset:26368
	ds_read_b128 v[104:107], v94 offset:9984
	s_waitcnt lgkmcnt(2)
	v_dot2c_f32_f16_e32 v93, v16, v20
	v_dot2c_f32_f16_e32 v91, v16, v21
	;; [unrolled: 1-line block ×16, first 2 shown]
	s_waitcnt lgkmcnt(1)
	v_dot2c_f32_f16_e32 v89, v16, v24
	v_dot2c_f32_f16_e32 v87, v16, v25
	;; [unrolled: 1-line block ×16, first 2 shown]
	ds_read_b128 v[16:19], v94 offset:10240
	s_waitcnt lgkmcnt(1)
	v_dot2c_f32_f16_e32 v28, v104, v20
	v_dot2c_f32_f16_e32 v29, v104, v21
	;; [unrolled: 1-line block ×16, first 2 shown]
	ds_read_b128 v[20:23], v95 offset:26624
	v_dot2c_f32_f16_e32 v33, v104, v24
	v_dot2c_f32_f16_e32 v32, v104, v25
	;; [unrolled: 1-line block ×16, first 2 shown]
	ds_read_b128 v[24:27], v95 offset:26880
	ds_read_b128 v[104:107], v94 offset:10496
	s_waitcnt lgkmcnt(2)
	v_dot2c_f32_f16_e32 v93, v16, v20
	v_dot2c_f32_f16_e32 v91, v16, v21
	;; [unrolled: 1-line block ×16, first 2 shown]
	s_waitcnt lgkmcnt(1)
	v_dot2c_f32_f16_e32 v89, v16, v24
	v_dot2c_f32_f16_e32 v87, v16, v25
	;; [unrolled: 1-line block ×16, first 2 shown]
	ds_read_b128 v[16:19], v94 offset:10752
	s_waitcnt lgkmcnt(1)
	v_dot2c_f32_f16_e32 v28, v104, v20
	v_dot2c_f32_f16_e32 v29, v104, v21
	;; [unrolled: 1-line block ×16, first 2 shown]
	ds_read_b128 v[20:23], v95 offset:27136
	v_dot2c_f32_f16_e32 v33, v104, v24
	v_dot2c_f32_f16_e32 v32, v104, v25
	;; [unrolled: 1-line block ×16, first 2 shown]
	ds_read_b128 v[24:27], v95 offset:27392
	ds_read_b128 v[104:107], v94 offset:11008
	s_waitcnt lgkmcnt(2)
	v_dot2c_f32_f16_e32 v93, v16, v20
	v_dot2c_f32_f16_e32 v91, v16, v21
	;; [unrolled: 1-line block ×16, first 2 shown]
	s_waitcnt lgkmcnt(1)
	v_dot2c_f32_f16_e32 v89, v16, v24
	v_dot2c_f32_f16_e32 v87, v16, v25
	;; [unrolled: 1-line block ×16, first 2 shown]
	ds_read_b128 v[16:19], v94 offset:11264
	s_waitcnt lgkmcnt(1)
	v_dot2c_f32_f16_e32 v28, v104, v20
	v_dot2c_f32_f16_e32 v29, v104, v21
	;; [unrolled: 1-line block ×16, first 2 shown]
	ds_read_b128 v[20:23], v95 offset:27648
	v_dot2c_f32_f16_e32 v33, v104, v24
	v_dot2c_f32_f16_e32 v32, v104, v25
	v_dot2c_f32_f16_e32 v34, v104, v26
	v_dot2c_f32_f16_e32 v35, v104, v27
	v_dot2c_f32_f16_e32 v37, v105, v24
	v_dot2c_f32_f16_e32 v36, v105, v25
	v_dot2c_f32_f16_e32 v38, v105, v26
	v_dot2c_f32_f16_e32 v39, v105, v27
	v_dot2c_f32_f16_e32 v54, v106, v24
	v_dot2c_f32_f16_e32 v52, v106, v25
	v_dot2c_f32_f16_e32 v55, v106, v26
	v_dot2c_f32_f16_e32 v56, v106, v27
	v_dot2c_f32_f16_e32 v63, v107, v24
	v_dot2c_f32_f16_e32 v62, v107, v25
	v_dot2c_f32_f16_e32 v64, v107, v26
	v_dot2c_f32_f16_e32 v65, v107, v27
	ds_read_b128 v[24:27], v95 offset:27904
	ds_read_b128 v[104:107], v94 offset:11520
	s_waitcnt lgkmcnt(2)
	v_dot2c_f32_f16_e32 v93, v16, v20
	v_dot2c_f32_f16_e32 v91, v16, v21
	;; [unrolled: 1-line block ×16, first 2 shown]
	s_waitcnt lgkmcnt(1)
	v_dot2c_f32_f16_e32 v89, v16, v24
	v_dot2c_f32_f16_e32 v87, v16, v25
	;; [unrolled: 1-line block ×16, first 2 shown]
	ds_read_b128 v[16:19], v94 offset:11776
	s_waitcnt lgkmcnt(1)
	v_dot2c_f32_f16_e32 v28, v104, v20
	v_dot2c_f32_f16_e32 v29, v104, v21
	;; [unrolled: 1-line block ×16, first 2 shown]
	ds_read_b128 v[20:23], v95 offset:28160
	v_dot2c_f32_f16_e32 v33, v104, v24
	v_dot2c_f32_f16_e32 v32, v104, v25
	;; [unrolled: 1-line block ×16, first 2 shown]
	ds_read_b128 v[24:27], v95 offset:28416
	ds_read_b128 v[104:107], v94 offset:12032
	s_waitcnt lgkmcnt(2)
	v_dot2c_f32_f16_e32 v93, v16, v20
	v_dot2c_f32_f16_e32 v91, v16, v21
	v_dot2c_f32_f16_e32 v92, v16, v22
	v_dot2c_f32_f16_e32 v90, v16, v23
	v_dot2c_f32_f16_e32 v81, v17, v20
	v_dot2c_f32_f16_e32 v79, v17, v21
	v_dot2c_f32_f16_e32 v80, v17, v22
	v_dot2c_f32_f16_e32 v78, v17, v23
	v_dot2c_f32_f16_e32 v77, v18, v20
	v_dot2c_f32_f16_e32 v75, v18, v21
	v_dot2c_f32_f16_e32 v76, v18, v22
	v_dot2c_f32_f16_e32 v74, v18, v23
	v_dot2c_f32_f16_e32 v53, v19, v20
	v_dot2c_f32_f16_e32 v50, v19, v21
	v_dot2c_f32_f16_e32 v51, v19, v22
	v_dot2c_f32_f16_e32 v48, v19, v23
	s_waitcnt lgkmcnt(1)
	v_dot2c_f32_f16_e32 v89, v16, v24
	v_dot2c_f32_f16_e32 v87, v16, v25
	;; [unrolled: 1-line block ×16, first 2 shown]
	ds_read_b128 v[16:19], v94 offset:12288
	s_waitcnt lgkmcnt(1)
	v_dot2c_f32_f16_e32 v28, v104, v20
	v_dot2c_f32_f16_e32 v29, v104, v21
	;; [unrolled: 1-line block ×16, first 2 shown]
	ds_read_b128 v[20:23], v95 offset:28672
	v_dot2c_f32_f16_e32 v33, v104, v24
	v_dot2c_f32_f16_e32 v32, v104, v25
	;; [unrolled: 1-line block ×16, first 2 shown]
	ds_read_b128 v[24:27], v95 offset:28928
	ds_read_b128 v[104:107], v94 offset:12544
	s_waitcnt lgkmcnt(2)
	v_dot2c_f32_f16_e32 v93, v16, v20
	v_dot2c_f32_f16_e32 v91, v16, v21
	;; [unrolled: 1-line block ×16, first 2 shown]
	s_waitcnt lgkmcnt(1)
	v_dot2c_f32_f16_e32 v89, v16, v24
	v_dot2c_f32_f16_e32 v87, v16, v25
	;; [unrolled: 1-line block ×16, first 2 shown]
	ds_read_b128 v[16:19], v94 offset:12800
	ds_read_b128 v[108:111], v95 offset:29184
	s_waitcnt lgkmcnt(2)
	v_dot2c_f32_f16_e32 v28, v104, v20
	v_dot2c_f32_f16_e32 v29, v104, v21
	;; [unrolled: 1-line block ×32, first 2 shown]
	ds_read_b128 v[20:23], v95 offset:29440
	ds_read_b128 v[24:27], v94 offset:13056
	s_waitcnt lgkmcnt(2)
	v_dot2c_f32_f16_e32 v93, v16, v108
	v_dot2c_f32_f16_e32 v91, v16, v109
	v_dot2c_f32_f16_e32 v92, v16, v110
	v_dot2c_f32_f16_e32 v90, v16, v111
	v_dot2c_f32_f16_e32 v81, v17, v108
	v_dot2c_f32_f16_e32 v79, v17, v109
	v_dot2c_f32_f16_e32 v80, v17, v110
	v_dot2c_f32_f16_e32 v78, v17, v111
	v_dot2c_f32_f16_e32 v77, v18, v108
	v_dot2c_f32_f16_e32 v75, v18, v109
	v_dot2c_f32_f16_e32 v76, v18, v110
	v_dot2c_f32_f16_e32 v74, v18, v111
	v_dot2c_f32_f16_e32 v53, v19, v108
	v_dot2c_f32_f16_e32 v50, v19, v109
	v_dot2c_f32_f16_e32 v51, v19, v110
	v_dot2c_f32_f16_e32 v48, v19, v111
	s_waitcnt lgkmcnt(1)
	v_dot2c_f32_f16_e32 v89, v16, v20
	v_dot2c_f32_f16_e32 v87, v16, v21
	;; [unrolled: 1-line block ×16, first 2 shown]
	ds_read_b128 v[16:19], v94 offset:13312
	ds_read_b128 v[104:107], v95 offset:29696
	s_waitcnt lgkmcnt(2)
	v_dot2c_f32_f16_e32 v28, v24, v108
	v_dot2c_f32_f16_e32 v29, v24, v109
	v_dot2c_f32_f16_e32 v30, v24, v110
	v_dot2c_f32_f16_e32 v31, v24, v111
	v_dot2c_f32_f16_e32 v41, v25, v108
	v_dot2c_f32_f16_e32 v40, v25, v109
	v_dot2c_f32_f16_e32 v42, v25, v110
	v_dot2c_f32_f16_e32 v43, v25, v111
	v_dot2c_f32_f16_e32 v45, v26, v108
	v_dot2c_f32_f16_e32 v44, v26, v109
	v_dot2c_f32_f16_e32 v46, v26, v110
	v_dot2c_f32_f16_e32 v47, v26, v111
	v_dot2c_f32_f16_e32 v71, v27, v108
	v_dot2c_f32_f16_e32 v70, v27, v109
	v_dot2c_f32_f16_e32 v72, v27, v110
	v_dot2c_f32_f16_e32 v73, v27, v111
	v_dot2c_f32_f16_e32 v33, v24, v20
	v_dot2c_f32_f16_e32 v32, v24, v21
	v_dot2c_f32_f16_e32 v34, v24, v22
	v_dot2c_f32_f16_e32 v35, v24, v23
	v_dot2c_f32_f16_e32 v37, v25, v20
	v_dot2c_f32_f16_e32 v36, v25, v21
	v_dot2c_f32_f16_e32 v38, v25, v22
	v_dot2c_f32_f16_e32 v39, v25, v23
	v_dot2c_f32_f16_e32 v54, v26, v20
	v_dot2c_f32_f16_e32 v52, v26, v21
	v_dot2c_f32_f16_e32 v55, v26, v22
	v_dot2c_f32_f16_e32 v56, v26, v23
	v_dot2c_f32_f16_e32 v63, v27, v20
	v_dot2c_f32_f16_e32 v62, v27, v21
	v_dot2c_f32_f16_e32 v64, v27, v22
	v_dot2c_f32_f16_e32 v65, v27, v23
	ds_read_b128 v[20:23], v95 offset:29952
	ds_read_b128 v[24:27], v94 offset:13568
	s_waitcnt lgkmcnt(2)
	v_dot2c_f32_f16_e32 v93, v16, v104
	v_dot2c_f32_f16_e32 v91, v16, v105
	;; [unrolled: 1-line block ×16, first 2 shown]
	s_waitcnt lgkmcnt(1)
	v_dot2c_f32_f16_e32 v89, v16, v20
	v_dot2c_f32_f16_e32 v87, v16, v21
	;; [unrolled: 1-line block ×16, first 2 shown]
	ds_read_b128 v[16:19], v94 offset:13824
	s_waitcnt lgkmcnt(1)
	v_dot2c_f32_f16_e32 v28, v24, v104
	v_dot2c_f32_f16_e32 v29, v24, v105
	;; [unrolled: 1-line block ×16, first 2 shown]
	ds_read_b128 v[104:107], v95 offset:30208
	v_dot2c_f32_f16_e32 v33, v24, v20
	v_dot2c_f32_f16_e32 v32, v24, v21
	v_dot2c_f32_f16_e32 v34, v24, v22
	v_dot2c_f32_f16_e32 v35, v24, v23
	v_dot2c_f32_f16_e32 v37, v25, v20
	v_dot2c_f32_f16_e32 v36, v25, v21
	v_dot2c_f32_f16_e32 v38, v25, v22
	v_dot2c_f32_f16_e32 v39, v25, v23
	v_dot2c_f32_f16_e32 v54, v26, v20
	v_dot2c_f32_f16_e32 v52, v26, v21
	v_dot2c_f32_f16_e32 v55, v26, v22
	v_dot2c_f32_f16_e32 v56, v26, v23
	v_dot2c_f32_f16_e32 v63, v27, v20
	v_dot2c_f32_f16_e32 v62, v27, v21
	v_dot2c_f32_f16_e32 v64, v27, v22
	v_dot2c_f32_f16_e32 v65, v27, v23
	ds_read_b128 v[20:23], v95 offset:30464
	ds_read_b128 v[24:27], v94 offset:14080
	s_waitcnt lgkmcnt(2)
	v_dot2c_f32_f16_e32 v93, v16, v104
	v_dot2c_f32_f16_e32 v91, v16, v105
	;; [unrolled: 1-line block ×16, first 2 shown]
	s_waitcnt lgkmcnt(1)
	v_dot2c_f32_f16_e32 v89, v16, v20
	v_dot2c_f32_f16_e32 v87, v16, v21
	;; [unrolled: 1-line block ×16, first 2 shown]
	ds_read_b128 v[16:19], v94 offset:14336
	s_waitcnt lgkmcnt(1)
	v_dot2c_f32_f16_e32 v28, v24, v104
	v_dot2c_f32_f16_e32 v29, v24, v105
	;; [unrolled: 1-line block ×16, first 2 shown]
	ds_read_b128 v[104:107], v95 offset:30720
	v_dot2c_f32_f16_e32 v33, v24, v20
	v_dot2c_f32_f16_e32 v32, v24, v21
	v_dot2c_f32_f16_e32 v34, v24, v22
	v_dot2c_f32_f16_e32 v35, v24, v23
	v_dot2c_f32_f16_e32 v37, v25, v20
	v_dot2c_f32_f16_e32 v36, v25, v21
	v_dot2c_f32_f16_e32 v38, v25, v22
	v_dot2c_f32_f16_e32 v39, v25, v23
	v_dot2c_f32_f16_e32 v54, v26, v20
	v_dot2c_f32_f16_e32 v52, v26, v21
	v_dot2c_f32_f16_e32 v55, v26, v22
	v_dot2c_f32_f16_e32 v56, v26, v23
	v_dot2c_f32_f16_e32 v63, v27, v20
	v_dot2c_f32_f16_e32 v62, v27, v21
	v_dot2c_f32_f16_e32 v64, v27, v22
	v_dot2c_f32_f16_e32 v65, v27, v23
	ds_read_b128 v[20:23], v95 offset:30976
	ds_read_b128 v[24:27], v94 offset:14592
	s_waitcnt lgkmcnt(2)
	v_dot2c_f32_f16_e32 v93, v16, v104
	v_dot2c_f32_f16_e32 v91, v16, v105
	v_dot2c_f32_f16_e32 v92, v16, v106
	v_dot2c_f32_f16_e32 v90, v16, v107
	v_dot2c_f32_f16_e32 v81, v17, v104
	v_dot2c_f32_f16_e32 v79, v17, v105
	v_dot2c_f32_f16_e32 v80, v17, v106
	v_dot2c_f32_f16_e32 v78, v17, v107
	v_dot2c_f32_f16_e32 v77, v18, v104
	v_dot2c_f32_f16_e32 v75, v18, v105
	v_dot2c_f32_f16_e32 v76, v18, v106
	v_dot2c_f32_f16_e32 v74, v18, v107
	v_dot2c_f32_f16_e32 v53, v19, v104
	v_dot2c_f32_f16_e32 v50, v19, v105
	v_dot2c_f32_f16_e32 v51, v19, v106
	v_dot2c_f32_f16_e32 v48, v19, v107
	s_waitcnt lgkmcnt(1)
	v_dot2c_f32_f16_e32 v89, v16, v20
	v_dot2c_f32_f16_e32 v87, v16, v21
	;; [unrolled: 1-line block ×16, first 2 shown]
	ds_read_b128 v[16:19], v94 offset:14848
	s_waitcnt lgkmcnt(1)
	v_dot2c_f32_f16_e32 v28, v24, v104
	v_dot2c_f32_f16_e32 v29, v24, v105
	;; [unrolled: 1-line block ×16, first 2 shown]
	ds_read_b128 v[104:107], v95 offset:31232
	v_dot2c_f32_f16_e32 v33, v24, v20
	v_dot2c_f32_f16_e32 v32, v24, v21
	;; [unrolled: 1-line block ×16, first 2 shown]
	ds_read_b128 v[20:23], v95 offset:31488
	ds_read_b128 v[24:27], v94 offset:15104
	s_waitcnt lgkmcnt(2)
	v_dot2c_f32_f16_e32 v93, v16, v104
	v_dot2c_f32_f16_e32 v91, v16, v105
	v_dot2c_f32_f16_e32 v92, v16, v106
	v_dot2c_f32_f16_e32 v90, v16, v107
	v_dot2c_f32_f16_e32 v81, v17, v104
	v_dot2c_f32_f16_e32 v79, v17, v105
	v_dot2c_f32_f16_e32 v80, v17, v106
	v_dot2c_f32_f16_e32 v78, v17, v107
	v_dot2c_f32_f16_e32 v77, v18, v104
	v_dot2c_f32_f16_e32 v75, v18, v105
	v_dot2c_f32_f16_e32 v76, v18, v106
	v_dot2c_f32_f16_e32 v74, v18, v107
	v_dot2c_f32_f16_e32 v53, v19, v104
	v_dot2c_f32_f16_e32 v50, v19, v105
	v_dot2c_f32_f16_e32 v51, v19, v106
	v_dot2c_f32_f16_e32 v48, v19, v107
	s_waitcnt lgkmcnt(1)
	v_dot2c_f32_f16_e32 v89, v16, v20
	v_dot2c_f32_f16_e32 v87, v16, v21
	;; [unrolled: 1-line block ×16, first 2 shown]
	ds_read_b128 v[16:19], v94 offset:15360
	s_waitcnt lgkmcnt(1)
	v_dot2c_f32_f16_e32 v28, v24, v104
	v_dot2c_f32_f16_e32 v29, v24, v105
	v_dot2c_f32_f16_e32 v30, v24, v106
	v_dot2c_f32_f16_e32 v31, v24, v107
	v_dot2c_f32_f16_e32 v41, v25, v104
	v_dot2c_f32_f16_e32 v40, v25, v105
	v_dot2c_f32_f16_e32 v42, v25, v106
	v_dot2c_f32_f16_e32 v43, v25, v107
	v_dot2c_f32_f16_e32 v45, v26, v104
	v_dot2c_f32_f16_e32 v44, v26, v105
	v_dot2c_f32_f16_e32 v46, v26, v106
	v_dot2c_f32_f16_e32 v47, v26, v107
	v_dot2c_f32_f16_e32 v71, v27, v104
	v_dot2c_f32_f16_e32 v70, v27, v105
	v_dot2c_f32_f16_e32 v72, v27, v106
	v_dot2c_f32_f16_e32 v73, v27, v107
	ds_read_b128 v[104:107], v95 offset:31744
	v_dot2c_f32_f16_e32 v33, v24, v20
	v_dot2c_f32_f16_e32 v32, v24, v21
	;; [unrolled: 1-line block ×16, first 2 shown]
	ds_read_b128 v[20:23], v95 offset:32000
	ds_read_b128 v[24:27], v94 offset:15616
	s_waitcnt lgkmcnt(2)
	v_dot2c_f32_f16_e32 v93, v16, v104
	v_dot2c_f32_f16_e32 v91, v16, v105
	;; [unrolled: 1-line block ×16, first 2 shown]
	s_waitcnt lgkmcnt(1)
	v_dot2c_f32_f16_e32 v89, v16, v20
	v_dot2c_f32_f16_e32 v87, v16, v21
	;; [unrolled: 1-line block ×16, first 2 shown]
	ds_read_b128 v[16:19], v94 offset:15872
	s_waitcnt lgkmcnt(1)
	v_dot2c_f32_f16_e32 v28, v24, v104
	v_dot2c_f32_f16_e32 v29, v24, v105
	;; [unrolled: 1-line block ×16, first 2 shown]
	ds_read_b128 v[104:107], v95 offset:32256
	v_dot2c_f32_f16_e32 v33, v24, v20
	v_dot2c_f32_f16_e32 v32, v24, v21
	;; [unrolled: 1-line block ×16, first 2 shown]
	ds_read_b128 v[20:23], v95 offset:32512
	ds_read_b128 v[24:27], v94 offset:16128
	s_waitcnt lgkmcnt(2)
	v_dot2c_f32_f16_e32 v93, v16, v104
	v_dot2c_f32_f16_e32 v91, v16, v105
	v_dot2c_f32_f16_e32 v92, v16, v106
	v_dot2c_f32_f16_e32 v90, v16, v107
	v_dot2c_f32_f16_e32 v81, v17, v104
	v_dot2c_f32_f16_e32 v79, v17, v105
	v_dot2c_f32_f16_e32 v80, v17, v106
	v_dot2c_f32_f16_e32 v78, v17, v107
	v_dot2c_f32_f16_e32 v77, v18, v104
	v_dot2c_f32_f16_e32 v75, v18, v105
	v_dot2c_f32_f16_e32 v76, v18, v106
	v_dot2c_f32_f16_e32 v74, v18, v107
	v_dot2c_f32_f16_e32 v53, v19, v104
	v_dot2c_f32_f16_e32 v50, v19, v105
	v_dot2c_f32_f16_e32 v51, v19, v106
	v_dot2c_f32_f16_e32 v48, v19, v107
	s_waitcnt lgkmcnt(1)
	v_dot2c_f32_f16_e32 v89, v16, v20
	v_dot2c_f32_f16_e32 v87, v16, v21
	v_dot2c_f32_f16_e32 v88, v16, v22
	v_dot2c_f32_f16_e32 v86, v16, v23
	v_dot2c_f32_f16_e32 v85, v17, v20
	v_dot2c_f32_f16_e32 v83, v17, v21
	v_dot2c_f32_f16_e32 v84, v17, v22
	v_dot2c_f32_f16_e32 v82, v17, v23
	v_dot2c_f32_f16_e32 v69, v18, v20
	v_dot2c_f32_f16_e32 v67, v18, v21
	v_dot2c_f32_f16_e32 v68, v18, v22
	v_dot2c_f32_f16_e32 v66, v18, v23
	v_dot2c_f32_f16_e32 v61, v19, v20
	v_dot2c_f32_f16_e32 v59, v19, v21
	v_dot2c_f32_f16_e32 v60, v19, v22
	v_dot2c_f32_f16_e32 v57, v19, v23
	;; [unrolled: 17-line block ×3, first 2 shown]
	v_dot2c_f32_f16_e32 v33, v24, v20
	v_dot2c_f32_f16_e32 v32, v24, v21
	;; [unrolled: 1-line block ×16, first 2 shown]
	ds_write_b128 v96, v[0:3]
	ds_write_b128 v96, v[4:7] offset:512
	ds_write_b128 v96, v[8:11] offset:16384
	;; [unrolled: 1-line block ×3, first 2 shown]
	s_cbranch_scc1 .LBB1_1
; %bb.2:
	s_mul_i32 s15, s19, 3
	s_mul_i32 s20, s19, 30
	s_add_i32 s22, s20, s13
	s_add_i32 s20, s20, s15
	v_add_lshl_u32 v0, s22, v102, 1
	v_add_u32_e32 v1, s20, v102
	s_mul_i32 s14, s18, 3
	s_mul_i32 s21, s18, 30
	s_waitcnt lgkmcnt(0)
	s_barrier
	v_lshlrev_b32_e32 v2, 1, v1
	buffer_load_dwordx2 v[4:5], v0, s[4:7], 0 offen
	buffer_load_dwordx2 v[6:7], v2, s[4:7], 0 offen
	v_add_u32_e32 v0, s13, v1
	s_add_i32 s23, s21, s12
	v_lshlrev_b32_e32 v1, 1, v0
	v_subrev_u32_e32 v0, s19, v0
	s_add_i32 s21, s21, s14
	v_lshlrev_b32_e32 v0, 1, v0
	v_add_lshl_u32 v2, s23, v99, 1
	v_add_u32_e32 v3, s21, v99
	v_lshlrev_b32_e32 v16, 1, v3
	buffer_load_dwordx2 v[8:9], v2, s[8:11], 0 offen
	buffer_load_dwordx2 v[10:11], v16, s[8:11], 0 offen
	;; [unrolled: 1-line block ×4, first 2 shown]
	v_add_u32_e32 v0, s12, v3
	v_lshlrev_b32_e32 v1, 1, v0
	v_subrev_u32_e32 v0, s18, v0
	v_lshlrev_b32_e32 v0, 1, v0
	buffer_load_dwordx2 v[104:105], v1, s[8:11], 0 offen
	buffer_load_dwordx2 v[106:107], v0, s[8:11], 0 offen
	ds_read_b128 v[0:3], v94
	ds_read_b128 v[16:19], v95 offset:16384
	ds_read_b128 v[20:23], v95 offset:16640
	;; [unrolled: 1-line block ×4, first 2 shown]
	s_mov_b32 s4, 0x7060302
	s_mov_b32 s5, 0x5040100
	s_waitcnt lgkmcnt(2)
	v_dot2c_f32_f16_e32 v89, v0, v20
	v_dot2c_f32_f16_e32 v93, v0, v16
	;; [unrolled: 1-line block ×32, first 2 shown]
	s_waitcnt lgkmcnt(1)
	v_dot2c_f32_f16_e32 v28, v24, v16
	v_dot2c_f32_f16_e32 v29, v24, v17
	;; [unrolled: 1-line block ×30, first 2 shown]
	ds_read_b128 v[16:19], v95 offset:16896
	v_dot2c_f32_f16_e32 v64, v27, v22
	v_dot2c_f32_f16_e32 v65, v27, v23
	ds_read_b128 v[20:23], v95 offset:17152
	ds_read_b128 v[24:27], v94 offset:768
	s_waitcnt vmcnt(6)
	v_perm_b32 v1, v6, v4, s4
	s_waitcnt lgkmcnt(2)
	v_dot2c_f32_f16_e32 v93, v100, v16
	v_dot2c_f32_f16_e32 v91, v100, v17
	;; [unrolled: 1-line block ×16, first 2 shown]
	s_waitcnt lgkmcnt(1)
	v_dot2c_f32_f16_e32 v89, v100, v20
	v_dot2c_f32_f16_e32 v87, v100, v21
	;; [unrolled: 1-line block ×16, first 2 shown]
	ds_read_b128 v[100:103], v94 offset:1024
	s_waitcnt lgkmcnt(1)
	v_dot2c_f32_f16_e32 v28, v24, v16
	v_dot2c_f32_f16_e32 v29, v24, v17
	;; [unrolled: 1-line block ×16, first 2 shown]
	ds_read_b128 v[16:19], v95 offset:17408
	v_dot2c_f32_f16_e32 v33, v24, v20
	v_dot2c_f32_f16_e32 v32, v24, v21
	;; [unrolled: 1-line block ×16, first 2 shown]
	ds_read_b128 v[20:23], v95 offset:17664
	ds_read_b128 v[24:27], v94 offset:1280
	s_waitcnt lgkmcnt(2)
	v_dot2c_f32_f16_e32 v93, v100, v16
	v_dot2c_f32_f16_e32 v91, v100, v17
	;; [unrolled: 1-line block ×16, first 2 shown]
	s_waitcnt lgkmcnt(1)
	v_dot2c_f32_f16_e32 v89, v100, v20
	v_dot2c_f32_f16_e32 v87, v100, v21
	;; [unrolled: 1-line block ×16, first 2 shown]
	ds_read_b128 v[100:103], v94 offset:1536
	s_waitcnt lgkmcnt(1)
	v_dot2c_f32_f16_e32 v28, v24, v16
	v_dot2c_f32_f16_e32 v29, v24, v17
	;; [unrolled: 1-line block ×16, first 2 shown]
	ds_read_b128 v[16:19], v95 offset:17920
	v_dot2c_f32_f16_e32 v33, v24, v20
	v_dot2c_f32_f16_e32 v32, v24, v21
	;; [unrolled: 1-line block ×16, first 2 shown]
	ds_read_b128 v[20:23], v95 offset:18176
	ds_read_b128 v[24:27], v94 offset:1792
	s_waitcnt lgkmcnt(2)
	v_dot2c_f32_f16_e32 v93, v100, v16
	v_dot2c_f32_f16_e32 v91, v100, v17
	;; [unrolled: 1-line block ×16, first 2 shown]
	s_waitcnt lgkmcnt(1)
	v_dot2c_f32_f16_e32 v89, v100, v20
	v_dot2c_f32_f16_e32 v87, v100, v21
	;; [unrolled: 1-line block ×16, first 2 shown]
	ds_read_b128 v[100:103], v94 offset:2048
	s_waitcnt lgkmcnt(1)
	v_dot2c_f32_f16_e32 v28, v24, v16
	v_dot2c_f32_f16_e32 v29, v24, v17
	;; [unrolled: 1-line block ×16, first 2 shown]
	ds_read_b128 v[16:19], v95 offset:18432
	v_dot2c_f32_f16_e32 v33, v24, v20
	v_dot2c_f32_f16_e32 v32, v24, v21
	;; [unrolled: 1-line block ×16, first 2 shown]
	ds_read_b128 v[20:23], v95 offset:18688
	ds_read_b128 v[24:27], v94 offset:2304
	s_waitcnt lgkmcnt(2)
	v_dot2c_f32_f16_e32 v93, v100, v16
	v_dot2c_f32_f16_e32 v91, v100, v17
	;; [unrolled: 1-line block ×16, first 2 shown]
	s_waitcnt lgkmcnt(1)
	v_dot2c_f32_f16_e32 v89, v100, v20
	v_dot2c_f32_f16_e32 v87, v100, v21
	;; [unrolled: 1-line block ×16, first 2 shown]
	ds_read_b128 v[100:103], v94 offset:2560
	s_waitcnt lgkmcnt(1)
	v_dot2c_f32_f16_e32 v28, v24, v16
	v_dot2c_f32_f16_e32 v29, v24, v17
	;; [unrolled: 1-line block ×16, first 2 shown]
	ds_read_b128 v[16:19], v95 offset:18944
	v_dot2c_f32_f16_e32 v33, v24, v20
	v_dot2c_f32_f16_e32 v32, v24, v21
	;; [unrolled: 1-line block ×16, first 2 shown]
	ds_read_b128 v[20:23], v95 offset:19200
	ds_read_b128 v[24:27], v94 offset:2816
	s_waitcnt lgkmcnt(2)
	v_dot2c_f32_f16_e32 v93, v100, v16
	v_dot2c_f32_f16_e32 v91, v100, v17
	;; [unrolled: 1-line block ×16, first 2 shown]
	s_waitcnt lgkmcnt(1)
	v_dot2c_f32_f16_e32 v89, v100, v20
	v_dot2c_f32_f16_e32 v87, v100, v21
	;; [unrolled: 1-line block ×16, first 2 shown]
	ds_read_b128 v[100:103], v94 offset:3072
	s_waitcnt lgkmcnt(1)
	v_dot2c_f32_f16_e32 v28, v24, v16
	v_dot2c_f32_f16_e32 v29, v24, v17
	;; [unrolled: 1-line block ×16, first 2 shown]
	ds_read_b128 v[16:19], v95 offset:19456
	v_dot2c_f32_f16_e32 v33, v24, v20
	v_dot2c_f32_f16_e32 v32, v24, v21
	;; [unrolled: 1-line block ×16, first 2 shown]
	ds_read_b128 v[20:23], v95 offset:19712
	ds_read_b128 v[24:27], v94 offset:3328
	s_waitcnt lgkmcnt(2)
	v_dot2c_f32_f16_e32 v93, v100, v16
	v_dot2c_f32_f16_e32 v91, v100, v17
	;; [unrolled: 1-line block ×16, first 2 shown]
	s_waitcnt lgkmcnt(1)
	v_dot2c_f32_f16_e32 v89, v100, v20
	v_dot2c_f32_f16_e32 v87, v100, v21
	v_dot2c_f32_f16_e32 v88, v100, v22
	v_dot2c_f32_f16_e32 v86, v100, v23
	v_dot2c_f32_f16_e32 v85, v101, v20
	v_dot2c_f32_f16_e32 v83, v101, v21
	v_dot2c_f32_f16_e32 v84, v101, v22
	v_dot2c_f32_f16_e32 v82, v101, v23
	v_dot2c_f32_f16_e32 v69, v102, v20
	v_dot2c_f32_f16_e32 v67, v102, v21
	v_dot2c_f32_f16_e32 v68, v102, v22
	v_dot2c_f32_f16_e32 v66, v102, v23
	v_dot2c_f32_f16_e32 v61, v103, v20
	v_dot2c_f32_f16_e32 v59, v103, v21
	v_dot2c_f32_f16_e32 v60, v103, v22
	v_dot2c_f32_f16_e32 v57, v103, v23
	ds_read_b128 v[100:103], v94 offset:3584
	s_waitcnt lgkmcnt(1)
	v_dot2c_f32_f16_e32 v28, v24, v16
	v_dot2c_f32_f16_e32 v29, v24, v17
	;; [unrolled: 1-line block ×16, first 2 shown]
	ds_read_b128 v[16:19], v95 offset:19968
	v_dot2c_f32_f16_e32 v33, v24, v20
	v_dot2c_f32_f16_e32 v32, v24, v21
	;; [unrolled: 1-line block ×16, first 2 shown]
	ds_read_b128 v[20:23], v95 offset:20224
	ds_read_b128 v[24:27], v94 offset:3840
	s_waitcnt lgkmcnt(2)
	v_dot2c_f32_f16_e32 v93, v100, v16
	v_dot2c_f32_f16_e32 v91, v100, v17
	v_dot2c_f32_f16_e32 v92, v100, v18
	v_dot2c_f32_f16_e32 v90, v100, v19
	v_dot2c_f32_f16_e32 v81, v101, v16
	v_dot2c_f32_f16_e32 v79, v101, v17
	v_dot2c_f32_f16_e32 v80, v101, v18
	v_dot2c_f32_f16_e32 v78, v101, v19
	v_dot2c_f32_f16_e32 v77, v102, v16
	v_dot2c_f32_f16_e32 v75, v102, v17
	v_dot2c_f32_f16_e32 v76, v102, v18
	v_dot2c_f32_f16_e32 v74, v102, v19
	v_dot2c_f32_f16_e32 v53, v103, v16
	v_dot2c_f32_f16_e32 v50, v103, v17
	v_dot2c_f32_f16_e32 v51, v103, v18
	v_dot2c_f32_f16_e32 v48, v103, v19
	s_waitcnt lgkmcnt(1)
	v_dot2c_f32_f16_e32 v89, v100, v20
	v_dot2c_f32_f16_e32 v87, v100, v21
	;; [unrolled: 1-line block ×16, first 2 shown]
	ds_read_b128 v[100:103], v94 offset:4096
	s_waitcnt lgkmcnt(1)
	v_dot2c_f32_f16_e32 v28, v24, v16
	v_dot2c_f32_f16_e32 v29, v24, v17
	;; [unrolled: 1-line block ×16, first 2 shown]
	ds_read_b128 v[16:19], v95 offset:20480
	v_dot2c_f32_f16_e32 v33, v24, v20
	v_dot2c_f32_f16_e32 v32, v24, v21
	;; [unrolled: 1-line block ×16, first 2 shown]
	ds_read_b128 v[20:23], v95 offset:20736
	ds_read_b128 v[24:27], v94 offset:4352
	s_waitcnt lgkmcnt(2)
	v_dot2c_f32_f16_e32 v93, v100, v16
	v_dot2c_f32_f16_e32 v91, v100, v17
	;; [unrolled: 1-line block ×16, first 2 shown]
	s_waitcnt lgkmcnt(1)
	v_dot2c_f32_f16_e32 v89, v100, v20
	v_dot2c_f32_f16_e32 v87, v100, v21
	v_dot2c_f32_f16_e32 v88, v100, v22
	v_dot2c_f32_f16_e32 v86, v100, v23
	v_dot2c_f32_f16_e32 v85, v101, v20
	v_dot2c_f32_f16_e32 v83, v101, v21
	v_dot2c_f32_f16_e32 v84, v101, v22
	v_dot2c_f32_f16_e32 v82, v101, v23
	v_dot2c_f32_f16_e32 v69, v102, v20
	v_dot2c_f32_f16_e32 v67, v102, v21
	v_dot2c_f32_f16_e32 v68, v102, v22
	v_dot2c_f32_f16_e32 v66, v102, v23
	v_dot2c_f32_f16_e32 v61, v103, v20
	v_dot2c_f32_f16_e32 v59, v103, v21
	v_dot2c_f32_f16_e32 v60, v103, v22
	v_dot2c_f32_f16_e32 v57, v103, v23
	ds_read_b128 v[100:103], v94 offset:4608
	s_waitcnt lgkmcnt(1)
	v_dot2c_f32_f16_e32 v28, v24, v16
	v_dot2c_f32_f16_e32 v29, v24, v17
	;; [unrolled: 1-line block ×16, first 2 shown]
	ds_read_b128 v[16:19], v95 offset:20992
	v_dot2c_f32_f16_e32 v33, v24, v20
	v_dot2c_f32_f16_e32 v32, v24, v21
	;; [unrolled: 1-line block ×16, first 2 shown]
	ds_read_b128 v[20:23], v95 offset:21248
	ds_read_b128 v[24:27], v94 offset:4864
	s_waitcnt lgkmcnt(2)
	v_dot2c_f32_f16_e32 v93, v100, v16
	v_dot2c_f32_f16_e32 v91, v100, v17
	;; [unrolled: 1-line block ×16, first 2 shown]
	s_waitcnt lgkmcnt(1)
	v_dot2c_f32_f16_e32 v89, v100, v20
	v_dot2c_f32_f16_e32 v87, v100, v21
	;; [unrolled: 1-line block ×16, first 2 shown]
	ds_read_b128 v[100:103], v94 offset:5120
	s_waitcnt lgkmcnt(1)
	v_dot2c_f32_f16_e32 v28, v24, v16
	v_dot2c_f32_f16_e32 v29, v24, v17
	;; [unrolled: 1-line block ×16, first 2 shown]
	ds_read_b128 v[16:19], v95 offset:21504
	v_dot2c_f32_f16_e32 v33, v24, v20
	v_dot2c_f32_f16_e32 v32, v24, v21
	;; [unrolled: 1-line block ×16, first 2 shown]
	ds_read_b128 v[20:23], v95 offset:21760
	ds_read_b128 v[24:27], v94 offset:5376
	s_waitcnt lgkmcnt(2)
	v_dot2c_f32_f16_e32 v93, v100, v16
	v_dot2c_f32_f16_e32 v91, v100, v17
	;; [unrolled: 1-line block ×16, first 2 shown]
	s_waitcnt lgkmcnt(1)
	v_dot2c_f32_f16_e32 v89, v100, v20
	v_dot2c_f32_f16_e32 v87, v100, v21
	v_dot2c_f32_f16_e32 v88, v100, v22
	v_dot2c_f32_f16_e32 v86, v100, v23
	v_dot2c_f32_f16_e32 v85, v101, v20
	v_dot2c_f32_f16_e32 v83, v101, v21
	v_dot2c_f32_f16_e32 v84, v101, v22
	v_dot2c_f32_f16_e32 v82, v101, v23
	v_dot2c_f32_f16_e32 v69, v102, v20
	v_dot2c_f32_f16_e32 v67, v102, v21
	v_dot2c_f32_f16_e32 v68, v102, v22
	v_dot2c_f32_f16_e32 v66, v102, v23
	v_dot2c_f32_f16_e32 v61, v103, v20
	v_dot2c_f32_f16_e32 v59, v103, v21
	v_dot2c_f32_f16_e32 v60, v103, v22
	v_dot2c_f32_f16_e32 v57, v103, v23
	ds_read_b128 v[100:103], v94 offset:5632
	s_waitcnt lgkmcnt(1)
	v_dot2c_f32_f16_e32 v28, v24, v16
	v_dot2c_f32_f16_e32 v29, v24, v17
	v_dot2c_f32_f16_e32 v30, v24, v18
	v_dot2c_f32_f16_e32 v31, v24, v19
	v_dot2c_f32_f16_e32 v41, v25, v16
	v_dot2c_f32_f16_e32 v40, v25, v17
	v_dot2c_f32_f16_e32 v42, v25, v18
	v_dot2c_f32_f16_e32 v43, v25, v19
	v_dot2c_f32_f16_e32 v45, v26, v16
	v_dot2c_f32_f16_e32 v44, v26, v17
	v_dot2c_f32_f16_e32 v46, v26, v18
	v_dot2c_f32_f16_e32 v47, v26, v19
	v_dot2c_f32_f16_e32 v71, v27, v16
	v_dot2c_f32_f16_e32 v70, v27, v17
	v_dot2c_f32_f16_e32 v72, v27, v18
	v_dot2c_f32_f16_e32 v73, v27, v19
	ds_read_b128 v[16:19], v95 offset:22016
	v_dot2c_f32_f16_e32 v33, v24, v20
	v_dot2c_f32_f16_e32 v32, v24, v21
	;; [unrolled: 1-line block ×16, first 2 shown]
	ds_read_b128 v[20:23], v95 offset:22272
	ds_read_b128 v[24:27], v94 offset:5888
	s_waitcnt lgkmcnt(2)
	v_dot2c_f32_f16_e32 v93, v100, v16
	v_dot2c_f32_f16_e32 v91, v100, v17
	;; [unrolled: 1-line block ×16, first 2 shown]
	s_waitcnt lgkmcnt(1)
	v_dot2c_f32_f16_e32 v89, v100, v20
	v_dot2c_f32_f16_e32 v87, v100, v21
	;; [unrolled: 1-line block ×16, first 2 shown]
	ds_read_b128 v[100:103], v94 offset:6144
	s_waitcnt lgkmcnt(1)
	v_dot2c_f32_f16_e32 v28, v24, v16
	v_dot2c_f32_f16_e32 v29, v24, v17
	;; [unrolled: 1-line block ×16, first 2 shown]
	ds_read_b128 v[16:19], v95 offset:22528
	v_dot2c_f32_f16_e32 v33, v24, v20
	v_dot2c_f32_f16_e32 v32, v24, v21
	;; [unrolled: 1-line block ×16, first 2 shown]
	ds_read_b128 v[20:23], v95 offset:22784
	ds_read_b128 v[24:27], v94 offset:6400
	s_waitcnt lgkmcnt(2)
	v_dot2c_f32_f16_e32 v93, v100, v16
	v_dot2c_f32_f16_e32 v91, v100, v17
	;; [unrolled: 1-line block ×16, first 2 shown]
	s_waitcnt lgkmcnt(1)
	v_dot2c_f32_f16_e32 v89, v100, v20
	v_dot2c_f32_f16_e32 v87, v100, v21
	v_dot2c_f32_f16_e32 v88, v100, v22
	v_dot2c_f32_f16_e32 v86, v100, v23
	v_dot2c_f32_f16_e32 v85, v101, v20
	v_dot2c_f32_f16_e32 v83, v101, v21
	v_dot2c_f32_f16_e32 v84, v101, v22
	v_dot2c_f32_f16_e32 v82, v101, v23
	v_dot2c_f32_f16_e32 v69, v102, v20
	v_dot2c_f32_f16_e32 v67, v102, v21
	v_dot2c_f32_f16_e32 v68, v102, v22
	v_dot2c_f32_f16_e32 v66, v102, v23
	v_dot2c_f32_f16_e32 v61, v103, v20
	v_dot2c_f32_f16_e32 v59, v103, v21
	v_dot2c_f32_f16_e32 v60, v103, v22
	v_dot2c_f32_f16_e32 v57, v103, v23
	ds_read_b128 v[100:103], v94 offset:6656
	s_waitcnt lgkmcnt(1)
	v_dot2c_f32_f16_e32 v28, v24, v16
	v_dot2c_f32_f16_e32 v29, v24, v17
	;; [unrolled: 1-line block ×16, first 2 shown]
	ds_read_b128 v[16:19], v95 offset:23040
	v_dot2c_f32_f16_e32 v33, v24, v20
	v_dot2c_f32_f16_e32 v32, v24, v21
	;; [unrolled: 1-line block ×16, first 2 shown]
	ds_read_b128 v[20:23], v95 offset:23296
	ds_read_b128 v[24:27], v94 offset:6912
	s_waitcnt lgkmcnt(2)
	v_dot2c_f32_f16_e32 v93, v100, v16
	v_dot2c_f32_f16_e32 v91, v100, v17
	v_dot2c_f32_f16_e32 v92, v100, v18
	v_dot2c_f32_f16_e32 v90, v100, v19
	v_dot2c_f32_f16_e32 v81, v101, v16
	v_dot2c_f32_f16_e32 v79, v101, v17
	v_dot2c_f32_f16_e32 v80, v101, v18
	v_dot2c_f32_f16_e32 v78, v101, v19
	v_dot2c_f32_f16_e32 v77, v102, v16
	v_dot2c_f32_f16_e32 v75, v102, v17
	v_dot2c_f32_f16_e32 v76, v102, v18
	v_dot2c_f32_f16_e32 v74, v102, v19
	v_dot2c_f32_f16_e32 v53, v103, v16
	v_dot2c_f32_f16_e32 v50, v103, v17
	v_dot2c_f32_f16_e32 v51, v103, v18
	v_dot2c_f32_f16_e32 v48, v103, v19
	s_waitcnt lgkmcnt(1)
	v_dot2c_f32_f16_e32 v89, v100, v20
	v_dot2c_f32_f16_e32 v87, v100, v21
	;; [unrolled: 1-line block ×16, first 2 shown]
	ds_read_b128 v[100:103], v94 offset:7168
	s_waitcnt lgkmcnt(1)
	v_dot2c_f32_f16_e32 v28, v24, v16
	v_dot2c_f32_f16_e32 v29, v24, v17
	v_dot2c_f32_f16_e32 v30, v24, v18
	v_dot2c_f32_f16_e32 v31, v24, v19
	v_dot2c_f32_f16_e32 v41, v25, v16
	v_dot2c_f32_f16_e32 v40, v25, v17
	v_dot2c_f32_f16_e32 v42, v25, v18
	v_dot2c_f32_f16_e32 v43, v25, v19
	v_dot2c_f32_f16_e32 v45, v26, v16
	v_dot2c_f32_f16_e32 v44, v26, v17
	v_dot2c_f32_f16_e32 v46, v26, v18
	v_dot2c_f32_f16_e32 v47, v26, v19
	v_dot2c_f32_f16_e32 v71, v27, v16
	v_dot2c_f32_f16_e32 v70, v27, v17
	v_dot2c_f32_f16_e32 v72, v27, v18
	v_dot2c_f32_f16_e32 v73, v27, v19
	ds_read_b128 v[16:19], v95 offset:23552
	v_dot2c_f32_f16_e32 v33, v24, v20
	v_dot2c_f32_f16_e32 v32, v24, v21
	;; [unrolled: 1-line block ×16, first 2 shown]
	ds_read_b128 v[20:23], v95 offset:23808
	ds_read_b128 v[24:27], v94 offset:7424
	v_perm_b32 v0, v6, v4, s5
	v_perm_b32 v2, v7, v5, s5
	v_perm_b32 v3, v7, v5, s4
	s_waitcnt vmcnt(4)
	v_perm_b32 v5, v10, v8, s4
	v_perm_b32 v4, v10, v8, s5
	v_perm_b32 v6, v11, v9, s5
	v_perm_b32 v7, v11, v9, s4
	s_waitcnt vmcnt(2)
	v_perm_b32 v9, v12, v14, s4
	;; [unrolled: 5-line block ×3, first 2 shown]
	v_perm_b32 v12, v104, v106, s5
	v_perm_b32 v14, v105, v107, s5
	;; [unrolled: 1-line block ×3, first 2 shown]
	s_waitcnt lgkmcnt(2)
	v_dot2c_f32_f16_e32 v93, v100, v16
	v_dot2c_f32_f16_e32 v91, v100, v17
	v_dot2c_f32_f16_e32 v92, v100, v18
	v_dot2c_f32_f16_e32 v90, v100, v19
	v_dot2c_f32_f16_e32 v81, v101, v16
	v_dot2c_f32_f16_e32 v79, v101, v17
	v_dot2c_f32_f16_e32 v80, v101, v18
	v_dot2c_f32_f16_e32 v78, v101, v19
	v_dot2c_f32_f16_e32 v77, v102, v16
	v_dot2c_f32_f16_e32 v75, v102, v17
	v_dot2c_f32_f16_e32 v76, v102, v18
	v_dot2c_f32_f16_e32 v74, v102, v19
	v_dot2c_f32_f16_e32 v53, v103, v16
	v_dot2c_f32_f16_e32 v50, v103, v17
	v_dot2c_f32_f16_e32 v51, v103, v18
	v_dot2c_f32_f16_e32 v48, v103, v19
	s_waitcnt lgkmcnt(1)
	v_dot2c_f32_f16_e32 v89, v100, v20
	v_dot2c_f32_f16_e32 v87, v100, v21
	;; [unrolled: 1-line block ×16, first 2 shown]
	ds_read_b128 v[100:103], v94 offset:7680
	s_waitcnt lgkmcnt(1)
	v_dot2c_f32_f16_e32 v28, v24, v16
	v_dot2c_f32_f16_e32 v29, v24, v17
	;; [unrolled: 1-line block ×16, first 2 shown]
	ds_read_b128 v[16:19], v95 offset:24064
	v_dot2c_f32_f16_e32 v33, v24, v20
	v_dot2c_f32_f16_e32 v32, v24, v21
	;; [unrolled: 1-line block ×16, first 2 shown]
	ds_read_b128 v[20:23], v95 offset:24320
	ds_read_b128 v[24:27], v94 offset:7936
	ds_write_b128 v96, v[0:3] offset:8192
	ds_write_b128 v98, v[8:11] offset:512
	;; [unrolled: 1-line block ×4, first 2 shown]
	s_waitcnt lgkmcnt(0)
	s_barrier
	ds_read_b128 v[0:3], v94 offset:8192
	ds_read_b128 v[4:7], v95 offset:24576
	ds_read_b128 v[8:11], v95 offset:24832
	ds_read_b128 v[12:15], v94 offset:8448
	v_dot2c_f32_f16_e32 v93, v100, v16
	v_dot2c_f32_f16_e32 v91, v100, v17
	;; [unrolled: 1-line block ×64, first 2 shown]
	s_waitcnt lgkmcnt(2)
	v_dot2c_f32_f16_e32 v93, v0, v4
	v_dot2c_f32_f16_e32 v91, v0, v5
	;; [unrolled: 1-line block ×16, first 2 shown]
	s_waitcnt lgkmcnt(1)
	v_dot2c_f32_f16_e32 v89, v0, v8
	v_dot2c_f32_f16_e32 v87, v0, v9
	;; [unrolled: 1-line block ×16, first 2 shown]
	ds_read_b128 v[0:3], v94 offset:8704
	s_waitcnt lgkmcnt(1)
	v_dot2c_f32_f16_e32 v28, v12, v4
	v_dot2c_f32_f16_e32 v29, v12, v5
	;; [unrolled: 1-line block ×16, first 2 shown]
	ds_read_b128 v[4:7], v95 offset:25088
	v_dot2c_f32_f16_e32 v33, v12, v8
	v_dot2c_f32_f16_e32 v32, v12, v9
	;; [unrolled: 1-line block ×16, first 2 shown]
	ds_read_b128 v[8:11], v95 offset:25344
	ds_read_b128 v[12:15], v94 offset:8960
	s_waitcnt lgkmcnt(2)
	v_dot2c_f32_f16_e32 v93, v0, v4
	v_dot2c_f32_f16_e32 v91, v0, v5
	;; [unrolled: 1-line block ×16, first 2 shown]
	s_waitcnt lgkmcnt(1)
	v_dot2c_f32_f16_e32 v89, v0, v8
	v_dot2c_f32_f16_e32 v87, v0, v9
	;; [unrolled: 1-line block ×16, first 2 shown]
	ds_read_b128 v[0:3], v94 offset:9216
	s_waitcnt lgkmcnt(1)
	v_dot2c_f32_f16_e32 v28, v12, v4
	v_dot2c_f32_f16_e32 v29, v12, v5
	;; [unrolled: 1-line block ×16, first 2 shown]
	ds_read_b128 v[4:7], v95 offset:25600
	v_dot2c_f32_f16_e32 v33, v12, v8
	v_dot2c_f32_f16_e32 v32, v12, v9
	v_dot2c_f32_f16_e32 v34, v12, v10
	v_dot2c_f32_f16_e32 v35, v12, v11
	v_dot2c_f32_f16_e32 v37, v13, v8
	v_dot2c_f32_f16_e32 v36, v13, v9
	v_dot2c_f32_f16_e32 v38, v13, v10
	v_dot2c_f32_f16_e32 v39, v13, v11
	v_dot2c_f32_f16_e32 v54, v14, v8
	v_dot2c_f32_f16_e32 v52, v14, v9
	v_dot2c_f32_f16_e32 v55, v14, v10
	v_dot2c_f32_f16_e32 v56, v14, v11
	v_dot2c_f32_f16_e32 v63, v15, v8
	v_dot2c_f32_f16_e32 v62, v15, v9
	v_dot2c_f32_f16_e32 v64, v15, v10
	v_dot2c_f32_f16_e32 v65, v15, v11
	ds_read_b128 v[8:11], v95 offset:25856
	ds_read_b128 v[12:15], v94 offset:9472
	s_waitcnt lgkmcnt(2)
	v_dot2c_f32_f16_e32 v93, v0, v4
	v_dot2c_f32_f16_e32 v91, v0, v5
	;; [unrolled: 1-line block ×16, first 2 shown]
	s_waitcnt lgkmcnt(1)
	v_dot2c_f32_f16_e32 v89, v0, v8
	v_dot2c_f32_f16_e32 v87, v0, v9
	;; [unrolled: 1-line block ×16, first 2 shown]
	ds_read_b128 v[0:3], v94 offset:9728
	s_waitcnt lgkmcnt(1)
	v_dot2c_f32_f16_e32 v28, v12, v4
	v_dot2c_f32_f16_e32 v29, v12, v5
	;; [unrolled: 1-line block ×16, first 2 shown]
	ds_read_b128 v[4:7], v95 offset:26112
	v_dot2c_f32_f16_e32 v33, v12, v8
	v_dot2c_f32_f16_e32 v32, v12, v9
	;; [unrolled: 1-line block ×16, first 2 shown]
	ds_read_b128 v[8:11], v95 offset:26368
	ds_read_b128 v[12:15], v94 offset:9984
	s_waitcnt lgkmcnt(2)
	v_dot2c_f32_f16_e32 v93, v0, v4
	v_dot2c_f32_f16_e32 v91, v0, v5
	;; [unrolled: 1-line block ×16, first 2 shown]
	s_waitcnt lgkmcnt(1)
	v_dot2c_f32_f16_e32 v89, v0, v8
	v_dot2c_f32_f16_e32 v87, v0, v9
	;; [unrolled: 1-line block ×16, first 2 shown]
	ds_read_b128 v[0:3], v94 offset:10240
	s_waitcnt lgkmcnt(1)
	v_dot2c_f32_f16_e32 v28, v12, v4
	v_dot2c_f32_f16_e32 v29, v12, v5
	;; [unrolled: 1-line block ×16, first 2 shown]
	ds_read_b128 v[4:7], v95 offset:26624
	v_dot2c_f32_f16_e32 v33, v12, v8
	v_dot2c_f32_f16_e32 v32, v12, v9
	;; [unrolled: 1-line block ×16, first 2 shown]
	ds_read_b128 v[8:11], v95 offset:26880
	ds_read_b128 v[12:15], v94 offset:10496
	s_waitcnt lgkmcnt(2)
	v_dot2c_f32_f16_e32 v93, v0, v4
	v_dot2c_f32_f16_e32 v91, v0, v5
	;; [unrolled: 1-line block ×16, first 2 shown]
	s_waitcnt lgkmcnt(1)
	v_dot2c_f32_f16_e32 v89, v0, v8
	v_dot2c_f32_f16_e32 v87, v0, v9
	;; [unrolled: 1-line block ×16, first 2 shown]
	ds_read_b128 v[0:3], v94 offset:10752
	s_waitcnt lgkmcnt(1)
	v_dot2c_f32_f16_e32 v28, v12, v4
	v_dot2c_f32_f16_e32 v29, v12, v5
	;; [unrolled: 1-line block ×16, first 2 shown]
	ds_read_b128 v[4:7], v95 offset:27136
	v_dot2c_f32_f16_e32 v33, v12, v8
	v_dot2c_f32_f16_e32 v32, v12, v9
	;; [unrolled: 1-line block ×16, first 2 shown]
	ds_read_b128 v[8:11], v95 offset:27392
	ds_read_b128 v[12:15], v94 offset:11008
	s_waitcnt lgkmcnt(2)
	v_dot2c_f32_f16_e32 v93, v0, v4
	v_dot2c_f32_f16_e32 v91, v0, v5
	;; [unrolled: 1-line block ×16, first 2 shown]
	s_waitcnt lgkmcnt(1)
	v_dot2c_f32_f16_e32 v89, v0, v8
	v_dot2c_f32_f16_e32 v87, v0, v9
	;; [unrolled: 1-line block ×16, first 2 shown]
	ds_read_b128 v[0:3], v94 offset:11264
	s_waitcnt lgkmcnt(1)
	v_dot2c_f32_f16_e32 v28, v12, v4
	v_dot2c_f32_f16_e32 v29, v12, v5
	;; [unrolled: 1-line block ×16, first 2 shown]
	ds_read_b128 v[4:7], v95 offset:27648
	v_dot2c_f32_f16_e32 v33, v12, v8
	v_dot2c_f32_f16_e32 v32, v12, v9
	;; [unrolled: 1-line block ×16, first 2 shown]
	ds_read_b128 v[8:11], v95 offset:27904
	ds_read_b128 v[12:15], v94 offset:11520
	s_waitcnt lgkmcnt(2)
	v_dot2c_f32_f16_e32 v93, v0, v4
	v_dot2c_f32_f16_e32 v91, v0, v5
	;; [unrolled: 1-line block ×16, first 2 shown]
	s_waitcnt lgkmcnt(1)
	v_dot2c_f32_f16_e32 v89, v0, v8
	v_dot2c_f32_f16_e32 v87, v0, v9
	;; [unrolled: 1-line block ×16, first 2 shown]
	ds_read_b128 v[0:3], v94 offset:11776
	s_waitcnt lgkmcnt(1)
	v_dot2c_f32_f16_e32 v28, v12, v4
	v_dot2c_f32_f16_e32 v29, v12, v5
	;; [unrolled: 1-line block ×16, first 2 shown]
	ds_read_b128 v[4:7], v95 offset:28160
	v_dot2c_f32_f16_e32 v33, v12, v8
	v_dot2c_f32_f16_e32 v32, v12, v9
	;; [unrolled: 1-line block ×16, first 2 shown]
	ds_read_b128 v[8:11], v95 offset:28416
	ds_read_b128 v[12:15], v94 offset:12032
	s_waitcnt lgkmcnt(2)
	v_dot2c_f32_f16_e32 v93, v0, v4
	v_dot2c_f32_f16_e32 v91, v0, v5
	;; [unrolled: 1-line block ×16, first 2 shown]
	s_waitcnt lgkmcnt(1)
	v_dot2c_f32_f16_e32 v89, v0, v8
	v_dot2c_f32_f16_e32 v87, v0, v9
	;; [unrolled: 1-line block ×16, first 2 shown]
	ds_read_b128 v[0:3], v94 offset:12288
	s_waitcnt lgkmcnt(1)
	v_dot2c_f32_f16_e32 v28, v12, v4
	v_dot2c_f32_f16_e32 v29, v12, v5
	;; [unrolled: 1-line block ×16, first 2 shown]
	ds_read_b128 v[4:7], v95 offset:28672
	v_dot2c_f32_f16_e32 v33, v12, v8
	v_dot2c_f32_f16_e32 v32, v12, v9
	;; [unrolled: 1-line block ×16, first 2 shown]
	ds_read_b128 v[8:11], v95 offset:28928
	ds_read_b128 v[12:15], v94 offset:12544
	s_waitcnt lgkmcnt(2)
	v_dot2c_f32_f16_e32 v93, v0, v4
	v_dot2c_f32_f16_e32 v91, v0, v5
	;; [unrolled: 1-line block ×16, first 2 shown]
	s_waitcnt lgkmcnt(1)
	v_dot2c_f32_f16_e32 v89, v0, v8
	v_dot2c_f32_f16_e32 v87, v0, v9
	;; [unrolled: 1-line block ×16, first 2 shown]
	ds_read_b128 v[0:3], v94 offset:12800
	s_waitcnt lgkmcnt(1)
	v_dot2c_f32_f16_e32 v28, v12, v4
	v_dot2c_f32_f16_e32 v29, v12, v5
	;; [unrolled: 1-line block ×16, first 2 shown]
	ds_read_b128 v[4:7], v95 offset:29184
	v_dot2c_f32_f16_e32 v33, v12, v8
	v_dot2c_f32_f16_e32 v32, v12, v9
	;; [unrolled: 1-line block ×16, first 2 shown]
	ds_read_b128 v[8:11], v95 offset:29440
	ds_read_b128 v[12:15], v94 offset:13056
	s_waitcnt lgkmcnt(2)
	v_dot2c_f32_f16_e32 v93, v0, v4
	v_dot2c_f32_f16_e32 v91, v0, v5
	;; [unrolled: 1-line block ×16, first 2 shown]
	s_waitcnt lgkmcnt(1)
	v_dot2c_f32_f16_e32 v89, v0, v8
	v_dot2c_f32_f16_e32 v87, v0, v9
	;; [unrolled: 1-line block ×16, first 2 shown]
	ds_read_b128 v[0:3], v94 offset:13312
	s_waitcnt lgkmcnt(1)
	v_dot2c_f32_f16_e32 v28, v12, v4
	v_dot2c_f32_f16_e32 v29, v12, v5
	;; [unrolled: 1-line block ×16, first 2 shown]
	ds_read_b128 v[4:7], v95 offset:29696
	v_dot2c_f32_f16_e32 v33, v12, v8
	v_dot2c_f32_f16_e32 v32, v12, v9
	;; [unrolled: 1-line block ×16, first 2 shown]
	ds_read_b128 v[8:11], v95 offset:29952
	ds_read_b128 v[12:15], v94 offset:13568
	s_waitcnt lgkmcnt(2)
	v_dot2c_f32_f16_e32 v93, v0, v4
	v_dot2c_f32_f16_e32 v91, v0, v5
	;; [unrolled: 1-line block ×16, first 2 shown]
	s_waitcnt lgkmcnt(1)
	v_dot2c_f32_f16_e32 v89, v0, v8
	v_dot2c_f32_f16_e32 v87, v0, v9
	;; [unrolled: 1-line block ×16, first 2 shown]
	ds_read_b128 v[0:3], v94 offset:13824
	s_waitcnt lgkmcnt(1)
	v_dot2c_f32_f16_e32 v28, v12, v4
	v_dot2c_f32_f16_e32 v29, v12, v5
	;; [unrolled: 1-line block ×16, first 2 shown]
	ds_read_b128 v[4:7], v95 offset:30208
	v_dot2c_f32_f16_e32 v33, v12, v8
	v_dot2c_f32_f16_e32 v32, v12, v9
	;; [unrolled: 1-line block ×16, first 2 shown]
	ds_read_b128 v[8:11], v95 offset:30464
	ds_read_b128 v[12:15], v94 offset:14080
	s_waitcnt lgkmcnt(2)
	v_dot2c_f32_f16_e32 v93, v0, v4
	v_dot2c_f32_f16_e32 v91, v0, v5
	v_dot2c_f32_f16_e32 v92, v0, v6
	v_dot2c_f32_f16_e32 v90, v0, v7
	v_dot2c_f32_f16_e32 v81, v1, v4
	v_dot2c_f32_f16_e32 v79, v1, v5
	v_dot2c_f32_f16_e32 v80, v1, v6
	v_dot2c_f32_f16_e32 v78, v1, v7
	v_dot2c_f32_f16_e32 v77, v2, v4
	v_dot2c_f32_f16_e32 v75, v2, v5
	v_dot2c_f32_f16_e32 v76, v2, v6
	v_dot2c_f32_f16_e32 v74, v2, v7
	v_dot2c_f32_f16_e32 v53, v3, v4
	v_dot2c_f32_f16_e32 v50, v3, v5
	v_dot2c_f32_f16_e32 v51, v3, v6
	v_dot2c_f32_f16_e32 v48, v3, v7
	s_waitcnt lgkmcnt(1)
	v_dot2c_f32_f16_e32 v89, v0, v8
	v_dot2c_f32_f16_e32 v87, v0, v9
	;; [unrolled: 1-line block ×16, first 2 shown]
	ds_read_b128 v[0:3], v94 offset:14336
	s_waitcnt lgkmcnt(1)
	v_dot2c_f32_f16_e32 v28, v12, v4
	v_dot2c_f32_f16_e32 v29, v12, v5
	;; [unrolled: 1-line block ×16, first 2 shown]
	ds_read_b128 v[4:7], v95 offset:30720
	v_dot2c_f32_f16_e32 v33, v12, v8
	v_dot2c_f32_f16_e32 v32, v12, v9
	;; [unrolled: 1-line block ×16, first 2 shown]
	ds_read_b128 v[8:11], v95 offset:30976
	ds_read_b128 v[12:15], v94 offset:14592
	s_waitcnt lgkmcnt(2)
	v_dot2c_f32_f16_e32 v93, v0, v4
	v_dot2c_f32_f16_e32 v91, v0, v5
	;; [unrolled: 1-line block ×16, first 2 shown]
	s_waitcnt lgkmcnt(1)
	v_dot2c_f32_f16_e32 v89, v0, v8
	v_dot2c_f32_f16_e32 v87, v0, v9
	;; [unrolled: 1-line block ×16, first 2 shown]
	ds_read_b128 v[0:3], v94 offset:14848
	s_waitcnt lgkmcnt(1)
	v_dot2c_f32_f16_e32 v28, v12, v4
	v_dot2c_f32_f16_e32 v29, v12, v5
	;; [unrolled: 1-line block ×16, first 2 shown]
	ds_read_b128 v[4:7], v95 offset:31232
	v_dot2c_f32_f16_e32 v33, v12, v8
	v_dot2c_f32_f16_e32 v32, v12, v9
	;; [unrolled: 1-line block ×16, first 2 shown]
	ds_read_b128 v[8:11], v95 offset:31488
	ds_read_b128 v[12:15], v94 offset:15104
	s_waitcnt lgkmcnt(2)
	v_dot2c_f32_f16_e32 v93, v0, v4
	v_dot2c_f32_f16_e32 v91, v0, v5
	;; [unrolled: 1-line block ×16, first 2 shown]
	s_waitcnt lgkmcnt(1)
	v_dot2c_f32_f16_e32 v89, v0, v8
	v_dot2c_f32_f16_e32 v87, v0, v9
	;; [unrolled: 1-line block ×16, first 2 shown]
	ds_read_b128 v[0:3], v94 offset:15360
	s_waitcnt lgkmcnt(1)
	v_dot2c_f32_f16_e32 v28, v12, v4
	v_dot2c_f32_f16_e32 v29, v12, v5
	;; [unrolled: 1-line block ×16, first 2 shown]
	ds_read_b128 v[4:7], v95 offset:31744
	v_dot2c_f32_f16_e32 v33, v12, v8
	v_dot2c_f32_f16_e32 v32, v12, v9
	;; [unrolled: 1-line block ×16, first 2 shown]
	ds_read_b128 v[8:11], v95 offset:32000
	ds_read_b128 v[12:15], v94 offset:15616
	s_waitcnt lgkmcnt(2)
	v_dot2c_f32_f16_e32 v93, v0, v4
	v_dot2c_f32_f16_e32 v91, v0, v5
	;; [unrolled: 1-line block ×16, first 2 shown]
	s_waitcnt lgkmcnt(1)
	v_dot2c_f32_f16_e32 v89, v0, v8
	v_dot2c_f32_f16_e32 v87, v0, v9
	;; [unrolled: 1-line block ×16, first 2 shown]
	ds_read_b128 v[0:3], v94 offset:15872
	s_waitcnt lgkmcnt(1)
	v_dot2c_f32_f16_e32 v28, v12, v4
	v_dot2c_f32_f16_e32 v29, v12, v5
	;; [unrolled: 1-line block ×16, first 2 shown]
	ds_read_b128 v[4:7], v95 offset:32256
	v_dot2c_f32_f16_e32 v33, v12, v8
	v_dot2c_f32_f16_e32 v32, v12, v9
	;; [unrolled: 1-line block ×16, first 2 shown]
	ds_read_b128 v[8:11], v95 offset:32512
	ds_read_b128 v[12:15], v94 offset:16128
	s_waitcnt lgkmcnt(2)
	v_dot2c_f32_f16_e32 v93, v0, v4
	v_dot2c_f32_f16_e32 v91, v0, v5
	v_dot2c_f32_f16_e32 v92, v0, v6
	v_dot2c_f32_f16_e32 v90, v0, v7
	v_dot2c_f32_f16_e32 v81, v1, v4
	v_dot2c_f32_f16_e32 v79, v1, v5
	v_dot2c_f32_f16_e32 v80, v1, v6
	v_dot2c_f32_f16_e32 v78, v1, v7
	v_dot2c_f32_f16_e32 v77, v2, v4
	v_dot2c_f32_f16_e32 v75, v2, v5
	v_dot2c_f32_f16_e32 v76, v2, v6
	v_dot2c_f32_f16_e32 v74, v2, v7
	v_dot2c_f32_f16_e32 v53, v3, v4
	v_dot2c_f32_f16_e32 v50, v3, v5
	v_dot2c_f32_f16_e32 v51, v3, v6
	v_dot2c_f32_f16_e32 v48, v3, v7
	s_waitcnt lgkmcnt(1)
	v_dot2c_f32_f16_e32 v85, v1, v8
	v_dot2c_f32_f16_e32 v83, v1, v9
	;; [unrolled: 1-line block ×12, first 2 shown]
	s_waitcnt lgkmcnt(0)
	v_dot2c_f32_f16_e32 v28, v12, v4
	v_dot2c_f32_f16_e32 v41, v13, v4
	;; [unrolled: 1-line block ×4, first 2 shown]
	v_cvt_f16_f32_e32 v2, v93
	v_cvt_f16_f32_e32 v1, v92
	;; [unrolled: 1-line block ×4, first 2 shown]
	v_dot2c_f32_f16_e32 v89, v0, v8
	v_dot2c_f32_f16_e32 v87, v0, v9
	;; [unrolled: 1-line block ×4, first 2 shown]
	v_add_u32_e32 v0, s17, v58
	v_mul_lo_u32 v0, v0, s16
	v_dot2c_f32_f16_e32 v29, v12, v5
	v_dot2c_f32_f16_e32 v30, v12, v6
	;; [unrolled: 1-line block ×12, first 2 shown]
	v_add3_u32 v5, s3, v49, v0
	v_pack_b32_f16 v1, v1, v3
	v_pack_b32_f16 v0, v2, v4
	v_cvt_f16_f32_e32 v3, v89
	v_cvt_f16_f32_e32 v4, v88
	;; [unrolled: 1-line block ×4, first 2 shown]
	s_lshl_b32 s2, s2, 1
	s_mov_b32 s3, 0x20000
	v_lshlrev_b32_e32 v2, 1, v5
	buffer_store_dwordx2 v[0:1], v2, s[0:3], 0 offen
	v_pack_b32_f16 v1, v4, v6
	v_pack_b32_f16 v0, v3, v7
	v_cvt_f16_f32_e32 v3, v85
	v_cvt_f16_f32_e32 v4, v84
	v_cvt_f16_f32_e32 v6, v82
	v_cvt_f16_f32_e32 v7, v83
	v_add_u32_e32 v2, 64, v5
	v_dot2c_f32_f16_e32 v33, v12, v8
	v_dot2c_f32_f16_e32 v37, v13, v8
	;; [unrolled: 1-line block ×4, first 2 shown]
	v_lshlrev_b32_e32 v8, 1, v2
	buffer_store_dwordx2 v[0:1], v8, s[0:3], 0 offen
	v_pack_b32_f16 v1, v4, v6
	v_pack_b32_f16 v0, v3, v7
	v_cvt_f16_f32_e32 v3, v81
	v_cvt_f16_f32_e32 v4, v80
	;; [unrolled: 1-line block ×4, first 2 shown]
	v_add_lshl_u32 v2, v2, s16, 1
	buffer_store_dwordx2 v[0:1], v2, s[0:3], 0 offen
	v_add_u32_e32 v2, s16, v5
	v_pack_b32_f16 v1, v4, v6
	v_pack_b32_f16 v0, v3, v7
	v_cvt_f16_f32_e32 v4, v77
	v_cvt_f16_f32_e32 v5, v76
	;; [unrolled: 1-line block ×4, first 2 shown]
	v_lshlrev_b32_e32 v3, 1, v2
	buffer_store_dwordx2 v[0:1], v3, s[0:3], 0 offen
	v_pack_b32_f16 v1, v5, v6
	v_pack_b32_f16 v0, v4, v7
	v_cvt_f16_f32_e32 v4, v69
	v_cvt_f16_f32_e32 v5, v68
	;; [unrolled: 1-line block ×4, first 2 shown]
	v_add_u32_e32 v2, s16, v2
	v_lshlrev_b32_e32 v3, 1, v2
	buffer_store_dwordx2 v[0:1], v3, s[0:3], 0 offen
	v_pack_b32_f16 v1, v5, v6
	v_pack_b32_f16 v0, v4, v7
	v_cvt_f16_f32_e32 v4, v61
	v_cvt_f16_f32_e32 v5, v60
	v_cvt_f16_f32_e32 v6, v57
	v_cvt_f16_f32_e32 v7, v59
	v_add_u32_e32 v3, 64, v2
	v_lshlrev_b32_e32 v8, 1, v3
	buffer_store_dwordx2 v[0:1], v8, s[0:3], 0 offen
	v_pack_b32_f16 v1, v5, v6
	v_pack_b32_f16 v0, v4, v7
	v_cvt_f16_f32_e32 v4, v53
	v_cvt_f16_f32_e32 v5, v51
	;; [unrolled: 1-line block ×4, first 2 shown]
	v_add_lshl_u32 v3, v3, s16, 1
	buffer_store_dwordx2 v[0:1], v3, s[0:3], 0 offen
	v_pack_b32_f16 v1, v5, v6
	v_pack_b32_f16 v0, v4, v7
	v_cvt_f16_f32_e32 v4, v71
	v_cvt_f16_f32_e32 v5, v72
	;; [unrolled: 1-line block ×4, first 2 shown]
	v_add_u32_e32 v2, s16, v2
	v_dot2c_f32_f16_e32 v62, v15, v9
	v_dot2c_f32_f16_e32 v64, v15, v10
	;; [unrolled: 1-line block ×3, first 2 shown]
	v_lshlrev_b32_e32 v3, 1, v2
	buffer_store_dwordx2 v[0:1], v3, s[0:3], 0 offen
	v_pack_b32_f16 v1, v5, v6
	v_pack_b32_f16 v0, v4, v7
	v_cvt_f16_f32_e32 v4, v63
	v_cvt_f16_f32_e32 v5, v64
	;; [unrolled: 1-line block ×4, first 2 shown]
	v_lshl_add_u32 v2, s16, 6, v2
	v_dot2c_f32_f16_e32 v52, v14, v9
	v_dot2c_f32_f16_e32 v55, v14, v10
	;; [unrolled: 1-line block ×3, first 2 shown]
	v_lshlrev_b32_e32 v3, 1, v2
	buffer_store_dwordx2 v[0:1], v3, s[0:3], 0 offen
	v_pack_b32_f16 v1, v5, v6
	v_pack_b32_f16 v0, v4, v7
	v_cvt_f16_f32_e32 v4, v54
	v_cvt_f16_f32_e32 v5, v55
	;; [unrolled: 1-line block ×4, first 2 shown]
	v_add_u32_e32 v2, 64, v2
	v_lshlrev_b32_e32 v3, 1, v2
	buffer_store_dwordx2 v[0:1], v3, s[0:3], 0 offen
	v_pack_b32_f16 v1, v5, v6
	v_pack_b32_f16 v0, v4, v7
	v_cvt_f16_f32_e32 v4, v45
	v_cvt_f16_f32_e32 v5, v46
	;; [unrolled: 1-line block ×4, first 2 shown]
	v_subrev_u32_e32 v2, s16, v2
	v_lshlrev_b32_e32 v3, 1, v2
	buffer_store_dwordx2 v[0:1], v3, s[0:3], 0 offen
	v_pack_b32_f16 v1, v5, v6
	v_pack_b32_f16 v0, v4, v7
	v_cvt_f16_f32_e32 v4, v41
	v_cvt_f16_f32_e32 v5, v42
	;; [unrolled: 1-line block ×4, first 2 shown]
	v_subrev_u32_e32 v2, 64, v2
	v_dot2c_f32_f16_e32 v36, v13, v9
	v_dot2c_f32_f16_e32 v38, v13, v10
	;; [unrolled: 1-line block ×3, first 2 shown]
	v_lshlrev_b32_e32 v3, 1, v2
	buffer_store_dwordx2 v[0:1], v3, s[0:3], 0 offen
	v_pack_b32_f16 v1, v5, v6
	v_pack_b32_f16 v0, v4, v7
	v_cvt_f16_f32_e32 v4, v37
	v_cvt_f16_f32_e32 v5, v38
	;; [unrolled: 1-line block ×4, first 2 shown]
	v_subrev_u32_e32 v2, s16, v2
	v_dot2c_f32_f16_e32 v32, v12, v9
	v_dot2c_f32_f16_e32 v34, v12, v10
	;; [unrolled: 1-line block ×3, first 2 shown]
	v_lshlrev_b32_e32 v3, 1, v2
	buffer_store_dwordx2 v[0:1], v3, s[0:3], 0 offen
	v_pack_b32_f16 v1, v5, v6
	v_pack_b32_f16 v0, v4, v7
	v_cvt_f16_f32_e32 v4, v33
	v_cvt_f16_f32_e32 v5, v34
	;; [unrolled: 1-line block ×4, first 2 shown]
	v_add_u32_e32 v2, 64, v2
	v_lshlrev_b32_e32 v3, 1, v2
	buffer_store_dwordx2 v[0:1], v3, s[0:3], 0 offen
	v_pack_b32_f16 v1, v5, v6
	v_pack_b32_f16 v0, v4, v7
	v_cvt_f16_f32_e32 v3, v28
	v_cvt_f16_f32_e32 v4, v30
	;; [unrolled: 1-line block ×4, first 2 shown]
	v_subrev_u32_e32 v2, s16, v2
	v_lshlrev_b32_e32 v2, 1, v2
	buffer_store_dwordx2 v[0:1], v2, s[0:3], 0 offen
	v_pack_b32_f16 v1, v4, v5
	v_pack_b32_f16 v0, v3, v6
	v_add_u32_e32 v2, 0xffffff80, v2
	buffer_store_dwordx2 v[0:1], v2, s[0:3], 0 offen
	s_endpgm
	.section	.rodata,"a",@progbits
	.p2align	6, 0x0
	.amdhsa_kernel _ZN2ck19kernel_gemm_dl_v1r3INS_28GridwiseGemmDl_km_kn_mn_v1r3ILi256EDF16_fDF16_LNS_25InMemoryDataOperationEnumE0ENS_16TensorDescriptorINS_5TupleIJNS_5EmbedINS4_IJiiEEENS4_IJNS_17integral_constantIiLi1EEEiEEELb0EEENS_7UnMergeINS4_IJiNS7_IiLi2EEEEEELb0EEENS_11PassThroughIiEEEEENS4_IJNS_8SequenceIJLi0EEEENSI_IJLi2EEEENSI_IJLi1EEEEEEENS4_IJNSI_IJLi1ELi2EEEENSI_IJLi3ELi4EEEENSI_IJLi5EEEEEEENSI_IJLi3ELi5ELi4EEEElEENS3_INS4_IJNS5_IS6_NS4_IJiS8_EEELb0EEESE_SG_EEENS4_IJSJ_SL_SK_EEESQ_SR_lEENS3_INS4_IJSU_SG_SG_EEESW_NS4_IJSN_NSI_IJLi3EEEENSI_IJLi4EEEEEEESO_lEELi128ELi128ELi16ELi2ELi4ELi4ELi1ENSI_IJLi8ELi2EEEES13_NSI_IJLi2ELi1ELi4ELi2EEEENSI_IJLi8ELi1ELi32ELi1EEEENSI_IJLi0ELi3ELi1ELi2EEEES16_NSI_IJLi1ELi1ELi4ELi1EEEES16_NSI_IJLi1ELi1ELi4ELi2EEEES14_S15_S16_S16_S17_S16_S18_NSI_IJLi0ELi1ELi2ELi3ELi4ELi5EEEELi5ELi4EEEDF16_DF16_NS3_INS4_IJSA_SE_SG_SG_NSB_INS4_IJiNS7_IiLi128EEEEEELb0EEENSF_ISC_EEEEENS4_IJSJ_SK_SL_SZ_SP_S10_EEENS4_IJSN_SO_SP_NSI_IJLi6EEEENSI_IJLi7ELi8EEEENSI_IJLi9EEEEEEENSI_IJLi6ELi7ELi8ELi9EEEElEENS3_INS4_IJSU_SE_SG_SG_S1D_S1E_EEENS4_IJSJ_SL_SK_SZ_SP_S10_EEES1K_S1L_lEENS3_INS4_IJSU_SG_SG_NSB_INS4_IJiSC_NS7_IiLi64EEEEEELb0EEES1S_EEENS4_IJSJ_SL_SK_SZ_S10_EEENS4_IJSN_SZ_S10_NSI_IJLi5ELi6ELi7EEEENSI_IJLi8ELi9ELi10EEEEEEENSI_IJLi5ELi6ELi7ELi8ELi9ELi10EEEElEENS_31BlockToCTileMap_M00_N00_M01_N01ILi128ELi128ES12_Lb0EEELb1ELb1EEEvPKT0_S24_PT1_T2_T3_T4_T5_
		.amdhsa_group_segment_fixed_size 32768
		.amdhsa_private_segment_fixed_size 0
		.amdhsa_kernarg_size 328
		.amdhsa_user_sgpr_count 6
		.amdhsa_user_sgpr_private_segment_buffer 1
		.amdhsa_user_sgpr_dispatch_ptr 0
		.amdhsa_user_sgpr_queue_ptr 0
		.amdhsa_user_sgpr_kernarg_segment_ptr 1
		.amdhsa_user_sgpr_dispatch_id 0
		.amdhsa_user_sgpr_flat_scratch_init 0
		.amdhsa_user_sgpr_kernarg_preload_length 0
		.amdhsa_user_sgpr_kernarg_preload_offset 0
		.amdhsa_user_sgpr_private_segment_size 0
		.amdhsa_uses_dynamic_stack 0
		.amdhsa_system_sgpr_private_segment_wavefront_offset 0
		.amdhsa_system_sgpr_workgroup_id_x 1
		.amdhsa_system_sgpr_workgroup_id_y 0
		.amdhsa_system_sgpr_workgroup_id_z 0
		.amdhsa_system_sgpr_workgroup_info 0
		.amdhsa_system_vgpr_workitem_id 0
		.amdhsa_next_free_vgpr 112
		.amdhsa_next_free_sgpr 43
		.amdhsa_accum_offset 112
		.amdhsa_reserve_vcc 0
		.amdhsa_reserve_flat_scratch 0
		.amdhsa_float_round_mode_32 0
		.amdhsa_float_round_mode_16_64 0
		.amdhsa_float_denorm_mode_32 3
		.amdhsa_float_denorm_mode_16_64 3
		.amdhsa_dx10_clamp 1
		.amdhsa_ieee_mode 1
		.amdhsa_fp16_overflow 0
		.amdhsa_tg_split 0
		.amdhsa_exception_fp_ieee_invalid_op 0
		.amdhsa_exception_fp_denorm_src 0
		.amdhsa_exception_fp_ieee_div_zero 0
		.amdhsa_exception_fp_ieee_overflow 0
		.amdhsa_exception_fp_ieee_underflow 0
		.amdhsa_exception_fp_ieee_inexact 0
		.amdhsa_exception_int_div_zero 0
	.end_amdhsa_kernel
	.section	.text._ZN2ck19kernel_gemm_dl_v1r3INS_28GridwiseGemmDl_km_kn_mn_v1r3ILi256EDF16_fDF16_LNS_25InMemoryDataOperationEnumE0ENS_16TensorDescriptorINS_5TupleIJNS_5EmbedINS4_IJiiEEENS4_IJNS_17integral_constantIiLi1EEEiEEELb0EEENS_7UnMergeINS4_IJiNS7_IiLi2EEEEEELb0EEENS_11PassThroughIiEEEEENS4_IJNS_8SequenceIJLi0EEEENSI_IJLi2EEEENSI_IJLi1EEEEEEENS4_IJNSI_IJLi1ELi2EEEENSI_IJLi3ELi4EEEENSI_IJLi5EEEEEEENSI_IJLi3ELi5ELi4EEEElEENS3_INS4_IJNS5_IS6_NS4_IJiS8_EEELb0EEESE_SG_EEENS4_IJSJ_SL_SK_EEESQ_SR_lEENS3_INS4_IJSU_SG_SG_EEESW_NS4_IJSN_NSI_IJLi3EEEENSI_IJLi4EEEEEEESO_lEELi128ELi128ELi16ELi2ELi4ELi4ELi1ENSI_IJLi8ELi2EEEES13_NSI_IJLi2ELi1ELi4ELi2EEEENSI_IJLi8ELi1ELi32ELi1EEEENSI_IJLi0ELi3ELi1ELi2EEEES16_NSI_IJLi1ELi1ELi4ELi1EEEES16_NSI_IJLi1ELi1ELi4ELi2EEEES14_S15_S16_S16_S17_S16_S18_NSI_IJLi0ELi1ELi2ELi3ELi4ELi5EEEELi5ELi4EEEDF16_DF16_NS3_INS4_IJSA_SE_SG_SG_NSB_INS4_IJiNS7_IiLi128EEEEEELb0EEENSF_ISC_EEEEENS4_IJSJ_SK_SL_SZ_SP_S10_EEENS4_IJSN_SO_SP_NSI_IJLi6EEEENSI_IJLi7ELi8EEEENSI_IJLi9EEEEEEENSI_IJLi6ELi7ELi8ELi9EEEElEENS3_INS4_IJSU_SE_SG_SG_S1D_S1E_EEENS4_IJSJ_SL_SK_SZ_SP_S10_EEES1K_S1L_lEENS3_INS4_IJSU_SG_SG_NSB_INS4_IJiSC_NS7_IiLi64EEEEEELb0EEES1S_EEENS4_IJSJ_SL_SK_SZ_S10_EEENS4_IJSN_SZ_S10_NSI_IJLi5ELi6ELi7EEEENSI_IJLi8ELi9ELi10EEEEEEENSI_IJLi5ELi6ELi7ELi8ELi9ELi10EEEElEENS_31BlockToCTileMap_M00_N00_M01_N01ILi128ELi128ES12_Lb0EEELb1ELb1EEEvPKT0_S24_PT1_T2_T3_T4_T5_,"axG",@progbits,_ZN2ck19kernel_gemm_dl_v1r3INS_28GridwiseGemmDl_km_kn_mn_v1r3ILi256EDF16_fDF16_LNS_25InMemoryDataOperationEnumE0ENS_16TensorDescriptorINS_5TupleIJNS_5EmbedINS4_IJiiEEENS4_IJNS_17integral_constantIiLi1EEEiEEELb0EEENS_7UnMergeINS4_IJiNS7_IiLi2EEEEEELb0EEENS_11PassThroughIiEEEEENS4_IJNS_8SequenceIJLi0EEEENSI_IJLi2EEEENSI_IJLi1EEEEEEENS4_IJNSI_IJLi1ELi2EEEENSI_IJLi3ELi4EEEENSI_IJLi5EEEEEEENSI_IJLi3ELi5ELi4EEEElEENS3_INS4_IJNS5_IS6_NS4_IJiS8_EEELb0EEESE_SG_EEENS4_IJSJ_SL_SK_EEESQ_SR_lEENS3_INS4_IJSU_SG_SG_EEESW_NS4_IJSN_NSI_IJLi3EEEENSI_IJLi4EEEEEEESO_lEELi128ELi128ELi16ELi2ELi4ELi4ELi1ENSI_IJLi8ELi2EEEES13_NSI_IJLi2ELi1ELi4ELi2EEEENSI_IJLi8ELi1ELi32ELi1EEEENSI_IJLi0ELi3ELi1ELi2EEEES16_NSI_IJLi1ELi1ELi4ELi1EEEES16_NSI_IJLi1ELi1ELi4ELi2EEEES14_S15_S16_S16_S17_S16_S18_NSI_IJLi0ELi1ELi2ELi3ELi4ELi5EEEELi5ELi4EEEDF16_DF16_NS3_INS4_IJSA_SE_SG_SG_NSB_INS4_IJiNS7_IiLi128EEEEEELb0EEENSF_ISC_EEEEENS4_IJSJ_SK_SL_SZ_SP_S10_EEENS4_IJSN_SO_SP_NSI_IJLi6EEEENSI_IJLi7ELi8EEEENSI_IJLi9EEEEEEENSI_IJLi6ELi7ELi8ELi9EEEElEENS3_INS4_IJSU_SE_SG_SG_S1D_S1E_EEENS4_IJSJ_SL_SK_SZ_SP_S10_EEES1K_S1L_lEENS3_INS4_IJSU_SG_SG_NSB_INS4_IJiSC_NS7_IiLi64EEEEEELb0EEES1S_EEENS4_IJSJ_SL_SK_SZ_S10_EEENS4_IJSN_SZ_S10_NSI_IJLi5ELi6ELi7EEEENSI_IJLi8ELi9ELi10EEEEEEENSI_IJLi5ELi6ELi7ELi8ELi9ELi10EEEElEENS_31BlockToCTileMap_M00_N00_M01_N01ILi128ELi128ES12_Lb0EEELb1ELb1EEEvPKT0_S24_PT1_T2_T3_T4_T5_,comdat
.Lfunc_end1:
	.size	_ZN2ck19kernel_gemm_dl_v1r3INS_28GridwiseGemmDl_km_kn_mn_v1r3ILi256EDF16_fDF16_LNS_25InMemoryDataOperationEnumE0ENS_16TensorDescriptorINS_5TupleIJNS_5EmbedINS4_IJiiEEENS4_IJNS_17integral_constantIiLi1EEEiEEELb0EEENS_7UnMergeINS4_IJiNS7_IiLi2EEEEEELb0EEENS_11PassThroughIiEEEEENS4_IJNS_8SequenceIJLi0EEEENSI_IJLi2EEEENSI_IJLi1EEEEEEENS4_IJNSI_IJLi1ELi2EEEENSI_IJLi3ELi4EEEENSI_IJLi5EEEEEEENSI_IJLi3ELi5ELi4EEEElEENS3_INS4_IJNS5_IS6_NS4_IJiS8_EEELb0EEESE_SG_EEENS4_IJSJ_SL_SK_EEESQ_SR_lEENS3_INS4_IJSU_SG_SG_EEESW_NS4_IJSN_NSI_IJLi3EEEENSI_IJLi4EEEEEEESO_lEELi128ELi128ELi16ELi2ELi4ELi4ELi1ENSI_IJLi8ELi2EEEES13_NSI_IJLi2ELi1ELi4ELi2EEEENSI_IJLi8ELi1ELi32ELi1EEEENSI_IJLi0ELi3ELi1ELi2EEEES16_NSI_IJLi1ELi1ELi4ELi1EEEES16_NSI_IJLi1ELi1ELi4ELi2EEEES14_S15_S16_S16_S17_S16_S18_NSI_IJLi0ELi1ELi2ELi3ELi4ELi5EEEELi5ELi4EEEDF16_DF16_NS3_INS4_IJSA_SE_SG_SG_NSB_INS4_IJiNS7_IiLi128EEEEEELb0EEENSF_ISC_EEEEENS4_IJSJ_SK_SL_SZ_SP_S10_EEENS4_IJSN_SO_SP_NSI_IJLi6EEEENSI_IJLi7ELi8EEEENSI_IJLi9EEEEEEENSI_IJLi6ELi7ELi8ELi9EEEElEENS3_INS4_IJSU_SE_SG_SG_S1D_S1E_EEENS4_IJSJ_SL_SK_SZ_SP_S10_EEES1K_S1L_lEENS3_INS4_IJSU_SG_SG_NSB_INS4_IJiSC_NS7_IiLi64EEEEEELb0EEES1S_EEENS4_IJSJ_SL_SK_SZ_S10_EEENS4_IJSN_SZ_S10_NSI_IJLi5ELi6ELi7EEEENSI_IJLi8ELi9ELi10EEEEEEENSI_IJLi5ELi6ELi7ELi8ELi9ELi10EEEElEENS_31BlockToCTileMap_M00_N00_M01_N01ILi128ELi128ES12_Lb0EEELb1ELb1EEEvPKT0_S24_PT1_T2_T3_T4_T5_, .Lfunc_end1-_ZN2ck19kernel_gemm_dl_v1r3INS_28GridwiseGemmDl_km_kn_mn_v1r3ILi256EDF16_fDF16_LNS_25InMemoryDataOperationEnumE0ENS_16TensorDescriptorINS_5TupleIJNS_5EmbedINS4_IJiiEEENS4_IJNS_17integral_constantIiLi1EEEiEEELb0EEENS_7UnMergeINS4_IJiNS7_IiLi2EEEEEELb0EEENS_11PassThroughIiEEEEENS4_IJNS_8SequenceIJLi0EEEENSI_IJLi2EEEENSI_IJLi1EEEEEEENS4_IJNSI_IJLi1ELi2EEEENSI_IJLi3ELi4EEEENSI_IJLi5EEEEEEENSI_IJLi3ELi5ELi4EEEElEENS3_INS4_IJNS5_IS6_NS4_IJiS8_EEELb0EEESE_SG_EEENS4_IJSJ_SL_SK_EEESQ_SR_lEENS3_INS4_IJSU_SG_SG_EEESW_NS4_IJSN_NSI_IJLi3EEEENSI_IJLi4EEEEEEESO_lEELi128ELi128ELi16ELi2ELi4ELi4ELi1ENSI_IJLi8ELi2EEEES13_NSI_IJLi2ELi1ELi4ELi2EEEENSI_IJLi8ELi1ELi32ELi1EEEENSI_IJLi0ELi3ELi1ELi2EEEES16_NSI_IJLi1ELi1ELi4ELi1EEEES16_NSI_IJLi1ELi1ELi4ELi2EEEES14_S15_S16_S16_S17_S16_S18_NSI_IJLi0ELi1ELi2ELi3ELi4ELi5EEEELi5ELi4EEEDF16_DF16_NS3_INS4_IJSA_SE_SG_SG_NSB_INS4_IJiNS7_IiLi128EEEEEELb0EEENSF_ISC_EEEEENS4_IJSJ_SK_SL_SZ_SP_S10_EEENS4_IJSN_SO_SP_NSI_IJLi6EEEENSI_IJLi7ELi8EEEENSI_IJLi9EEEEEEENSI_IJLi6ELi7ELi8ELi9EEEElEENS3_INS4_IJSU_SE_SG_SG_S1D_S1E_EEENS4_IJSJ_SL_SK_SZ_SP_S10_EEES1K_S1L_lEENS3_INS4_IJSU_SG_SG_NSB_INS4_IJiSC_NS7_IiLi64EEEEEELb0EEES1S_EEENS4_IJSJ_SL_SK_SZ_S10_EEENS4_IJSN_SZ_S10_NSI_IJLi5ELi6ELi7EEEENSI_IJLi8ELi9ELi10EEEEEEENSI_IJLi5ELi6ELi7ELi8ELi9ELi10EEEElEENS_31BlockToCTileMap_M00_N00_M01_N01ILi128ELi128ES12_Lb0EEELb1ELb1EEEvPKT0_S24_PT1_T2_T3_T4_T5_
                                        ; -- End function
	.section	.AMDGPU.csdata,"",@progbits
; Kernel info:
; codeLenInByte = 22216
; NumSgprs: 47
; NumVgprs: 112
; NumAgprs: 0
; TotalNumVgprs: 112
; ScratchSize: 0
; MemoryBound: 0
; FloatMode: 240
; IeeeMode: 1
; LDSByteSize: 32768 bytes/workgroup (compile time only)
; SGPRBlocks: 5
; VGPRBlocks: 13
; NumSGPRsForWavesPerEU: 47
; NumVGPRsForWavesPerEU: 112
; AccumOffset: 112
; Occupancy: 2
; WaveLimiterHint : 0
; COMPUTE_PGM_RSRC2:SCRATCH_EN: 0
; COMPUTE_PGM_RSRC2:USER_SGPR: 6
; COMPUTE_PGM_RSRC2:TRAP_HANDLER: 0
; COMPUTE_PGM_RSRC2:TGID_X_EN: 1
; COMPUTE_PGM_RSRC2:TGID_Y_EN: 0
; COMPUTE_PGM_RSRC2:TGID_Z_EN: 0
; COMPUTE_PGM_RSRC2:TIDIG_COMP_CNT: 0
; COMPUTE_PGM_RSRC3_GFX90A:ACCUM_OFFSET: 27
; COMPUTE_PGM_RSRC3_GFX90A:TG_SPLIT: 0
	.section	.text._ZN2ck19kernel_gemm_dl_v1r3INS_28GridwiseGemmDl_km_kn_mn_v1r3ILi256EDF16_fDF16_LNS_25InMemoryDataOperationEnumE0ENS_16TensorDescriptorINS_5TupleIJNS_5EmbedINS4_IJiiEEENS4_IJNS_17integral_constantIiLi1EEEiEEELb0EEENS_7UnMergeINS4_IJiNS7_IiLi2EEEEEELb0EEENS_11PassThroughIiEEEEENS4_IJNS_8SequenceIJLi0EEEENSI_IJLi2EEEENSI_IJLi1EEEEEEENS4_IJNSI_IJLi1ELi2EEEENSI_IJLi3ELi4EEEENSI_IJLi5EEEEEEENSI_IJLi3ELi5ELi4EEEElEENS3_INS4_IJNS5_IS6_NS4_IJiS8_EEELb0EEESE_SG_EEENS4_IJSJ_SL_SK_EEESQ_SR_lEENS3_INS4_IJSU_SG_SG_EEESW_NS4_IJSN_NSI_IJLi3EEEENSI_IJLi4EEEEEEESO_lEELi128ELi128ELi16ELi2ELi4ELi4ELi1ENSI_IJLi8ELi2EEEES13_NSI_IJLi2ELi1ELi4ELi2EEEENSI_IJLi8ELi1ELi32ELi1EEEENSI_IJLi0ELi3ELi1ELi2EEEES16_NSI_IJLi1ELi1ELi4ELi1EEEES16_NSI_IJLi1ELi1ELi4ELi2EEEES14_S15_S16_S16_S17_S16_S18_NSI_IJLi0ELi1ELi2ELi3ELi4ELi5EEEELi5ELi4EEEDF16_DF16_NS3_INS4_IJSA_SE_SG_SG_NSB_INS4_IJiNS7_IiLi128EEEEEELb0EEENSF_ISC_EEEEENS4_IJSJ_SK_SL_SZ_SP_S10_EEENS4_IJSN_SO_SP_NSI_IJLi6EEEENSI_IJLi7ELi8EEEENSI_IJLi9EEEEEEENSI_IJLi6ELi7ELi8ELi9EEEElEENS3_INS4_IJSU_SE_SG_SG_S1D_S1E_EEENS4_IJSJ_SL_SK_SZ_SP_S10_EEES1K_S1L_lEENS3_INS4_IJSU_SG_SG_NSB_INS4_IJiSC_NS7_IiLi64EEEEEELb0EEES1S_EEENS4_IJSJ_SL_SK_SZ_S10_EEENS4_IJSN_SZ_S10_NSI_IJLi5ELi6ELi7EEEENSI_IJLi8ELi9ELi10EEEEEEENSI_IJLi5ELi6ELi7ELi8ELi9ELi10EEEElEENS_31BlockToCTileMap_M00_N00_M01_N01ILi128ELi128ES12_Lb0EEELb1ELb0EEEvPKT0_S24_PT1_T2_T3_T4_T5_,"axG",@progbits,_ZN2ck19kernel_gemm_dl_v1r3INS_28GridwiseGemmDl_km_kn_mn_v1r3ILi256EDF16_fDF16_LNS_25InMemoryDataOperationEnumE0ENS_16TensorDescriptorINS_5TupleIJNS_5EmbedINS4_IJiiEEENS4_IJNS_17integral_constantIiLi1EEEiEEELb0EEENS_7UnMergeINS4_IJiNS7_IiLi2EEEEEELb0EEENS_11PassThroughIiEEEEENS4_IJNS_8SequenceIJLi0EEEENSI_IJLi2EEEENSI_IJLi1EEEEEEENS4_IJNSI_IJLi1ELi2EEEENSI_IJLi3ELi4EEEENSI_IJLi5EEEEEEENSI_IJLi3ELi5ELi4EEEElEENS3_INS4_IJNS5_IS6_NS4_IJiS8_EEELb0EEESE_SG_EEENS4_IJSJ_SL_SK_EEESQ_SR_lEENS3_INS4_IJSU_SG_SG_EEESW_NS4_IJSN_NSI_IJLi3EEEENSI_IJLi4EEEEEEESO_lEELi128ELi128ELi16ELi2ELi4ELi4ELi1ENSI_IJLi8ELi2EEEES13_NSI_IJLi2ELi1ELi4ELi2EEEENSI_IJLi8ELi1ELi32ELi1EEEENSI_IJLi0ELi3ELi1ELi2EEEES16_NSI_IJLi1ELi1ELi4ELi1EEEES16_NSI_IJLi1ELi1ELi4ELi2EEEES14_S15_S16_S16_S17_S16_S18_NSI_IJLi0ELi1ELi2ELi3ELi4ELi5EEEELi5ELi4EEEDF16_DF16_NS3_INS4_IJSA_SE_SG_SG_NSB_INS4_IJiNS7_IiLi128EEEEEELb0EEENSF_ISC_EEEEENS4_IJSJ_SK_SL_SZ_SP_S10_EEENS4_IJSN_SO_SP_NSI_IJLi6EEEENSI_IJLi7ELi8EEEENSI_IJLi9EEEEEEENSI_IJLi6ELi7ELi8ELi9EEEElEENS3_INS4_IJSU_SE_SG_SG_S1D_S1E_EEENS4_IJSJ_SL_SK_SZ_SP_S10_EEES1K_S1L_lEENS3_INS4_IJSU_SG_SG_NSB_INS4_IJiSC_NS7_IiLi64EEEEEELb0EEES1S_EEENS4_IJSJ_SL_SK_SZ_S10_EEENS4_IJSN_SZ_S10_NSI_IJLi5ELi6ELi7EEEENSI_IJLi8ELi9ELi10EEEEEEENSI_IJLi5ELi6ELi7ELi8ELi9ELi10EEEElEENS_31BlockToCTileMap_M00_N00_M01_N01ILi128ELi128ES12_Lb0EEELb1ELb0EEEvPKT0_S24_PT1_T2_T3_T4_T5_,comdat
	.protected	_ZN2ck19kernel_gemm_dl_v1r3INS_28GridwiseGemmDl_km_kn_mn_v1r3ILi256EDF16_fDF16_LNS_25InMemoryDataOperationEnumE0ENS_16TensorDescriptorINS_5TupleIJNS_5EmbedINS4_IJiiEEENS4_IJNS_17integral_constantIiLi1EEEiEEELb0EEENS_7UnMergeINS4_IJiNS7_IiLi2EEEEEELb0EEENS_11PassThroughIiEEEEENS4_IJNS_8SequenceIJLi0EEEENSI_IJLi2EEEENSI_IJLi1EEEEEEENS4_IJNSI_IJLi1ELi2EEEENSI_IJLi3ELi4EEEENSI_IJLi5EEEEEEENSI_IJLi3ELi5ELi4EEEElEENS3_INS4_IJNS5_IS6_NS4_IJiS8_EEELb0EEESE_SG_EEENS4_IJSJ_SL_SK_EEESQ_SR_lEENS3_INS4_IJSU_SG_SG_EEESW_NS4_IJSN_NSI_IJLi3EEEENSI_IJLi4EEEEEEESO_lEELi128ELi128ELi16ELi2ELi4ELi4ELi1ENSI_IJLi8ELi2EEEES13_NSI_IJLi2ELi1ELi4ELi2EEEENSI_IJLi8ELi1ELi32ELi1EEEENSI_IJLi0ELi3ELi1ELi2EEEES16_NSI_IJLi1ELi1ELi4ELi1EEEES16_NSI_IJLi1ELi1ELi4ELi2EEEES14_S15_S16_S16_S17_S16_S18_NSI_IJLi0ELi1ELi2ELi3ELi4ELi5EEEELi5ELi4EEEDF16_DF16_NS3_INS4_IJSA_SE_SG_SG_NSB_INS4_IJiNS7_IiLi128EEEEEELb0EEENSF_ISC_EEEEENS4_IJSJ_SK_SL_SZ_SP_S10_EEENS4_IJSN_SO_SP_NSI_IJLi6EEEENSI_IJLi7ELi8EEEENSI_IJLi9EEEEEEENSI_IJLi6ELi7ELi8ELi9EEEElEENS3_INS4_IJSU_SE_SG_SG_S1D_S1E_EEENS4_IJSJ_SL_SK_SZ_SP_S10_EEES1K_S1L_lEENS3_INS4_IJSU_SG_SG_NSB_INS4_IJiSC_NS7_IiLi64EEEEEELb0EEES1S_EEENS4_IJSJ_SL_SK_SZ_S10_EEENS4_IJSN_SZ_S10_NSI_IJLi5ELi6ELi7EEEENSI_IJLi8ELi9ELi10EEEEEEENSI_IJLi5ELi6ELi7ELi8ELi9ELi10EEEElEENS_31BlockToCTileMap_M00_N00_M01_N01ILi128ELi128ES12_Lb0EEELb1ELb0EEEvPKT0_S24_PT1_T2_T3_T4_T5_ ; -- Begin function _ZN2ck19kernel_gemm_dl_v1r3INS_28GridwiseGemmDl_km_kn_mn_v1r3ILi256EDF16_fDF16_LNS_25InMemoryDataOperationEnumE0ENS_16TensorDescriptorINS_5TupleIJNS_5EmbedINS4_IJiiEEENS4_IJNS_17integral_constantIiLi1EEEiEEELb0EEENS_7UnMergeINS4_IJiNS7_IiLi2EEEEEELb0EEENS_11PassThroughIiEEEEENS4_IJNS_8SequenceIJLi0EEEENSI_IJLi2EEEENSI_IJLi1EEEEEEENS4_IJNSI_IJLi1ELi2EEEENSI_IJLi3ELi4EEEENSI_IJLi5EEEEEEENSI_IJLi3ELi5ELi4EEEElEENS3_INS4_IJNS5_IS6_NS4_IJiS8_EEELb0EEESE_SG_EEENS4_IJSJ_SL_SK_EEESQ_SR_lEENS3_INS4_IJSU_SG_SG_EEESW_NS4_IJSN_NSI_IJLi3EEEENSI_IJLi4EEEEEEESO_lEELi128ELi128ELi16ELi2ELi4ELi4ELi1ENSI_IJLi8ELi2EEEES13_NSI_IJLi2ELi1ELi4ELi2EEEENSI_IJLi8ELi1ELi32ELi1EEEENSI_IJLi0ELi3ELi1ELi2EEEES16_NSI_IJLi1ELi1ELi4ELi1EEEES16_NSI_IJLi1ELi1ELi4ELi2EEEES14_S15_S16_S16_S17_S16_S18_NSI_IJLi0ELi1ELi2ELi3ELi4ELi5EEEELi5ELi4EEEDF16_DF16_NS3_INS4_IJSA_SE_SG_SG_NSB_INS4_IJiNS7_IiLi128EEEEEELb0EEENSF_ISC_EEEEENS4_IJSJ_SK_SL_SZ_SP_S10_EEENS4_IJSN_SO_SP_NSI_IJLi6EEEENSI_IJLi7ELi8EEEENSI_IJLi9EEEEEEENSI_IJLi6ELi7ELi8ELi9EEEElEENS3_INS4_IJSU_SE_SG_SG_S1D_S1E_EEENS4_IJSJ_SL_SK_SZ_SP_S10_EEES1K_S1L_lEENS3_INS4_IJSU_SG_SG_NSB_INS4_IJiSC_NS7_IiLi64EEEEEELb0EEES1S_EEENS4_IJSJ_SL_SK_SZ_S10_EEENS4_IJSN_SZ_S10_NSI_IJLi5ELi6ELi7EEEENSI_IJLi8ELi9ELi10EEEEEEENSI_IJLi5ELi6ELi7ELi8ELi9ELi10EEEElEENS_31BlockToCTileMap_M00_N00_M01_N01ILi128ELi128ES12_Lb0EEELb1ELb0EEEvPKT0_S24_PT1_T2_T3_T4_T5_
	.globl	_ZN2ck19kernel_gemm_dl_v1r3INS_28GridwiseGemmDl_km_kn_mn_v1r3ILi256EDF16_fDF16_LNS_25InMemoryDataOperationEnumE0ENS_16TensorDescriptorINS_5TupleIJNS_5EmbedINS4_IJiiEEENS4_IJNS_17integral_constantIiLi1EEEiEEELb0EEENS_7UnMergeINS4_IJiNS7_IiLi2EEEEEELb0EEENS_11PassThroughIiEEEEENS4_IJNS_8SequenceIJLi0EEEENSI_IJLi2EEEENSI_IJLi1EEEEEEENS4_IJNSI_IJLi1ELi2EEEENSI_IJLi3ELi4EEEENSI_IJLi5EEEEEEENSI_IJLi3ELi5ELi4EEEElEENS3_INS4_IJNS5_IS6_NS4_IJiS8_EEELb0EEESE_SG_EEENS4_IJSJ_SL_SK_EEESQ_SR_lEENS3_INS4_IJSU_SG_SG_EEESW_NS4_IJSN_NSI_IJLi3EEEENSI_IJLi4EEEEEEESO_lEELi128ELi128ELi16ELi2ELi4ELi4ELi1ENSI_IJLi8ELi2EEEES13_NSI_IJLi2ELi1ELi4ELi2EEEENSI_IJLi8ELi1ELi32ELi1EEEENSI_IJLi0ELi3ELi1ELi2EEEES16_NSI_IJLi1ELi1ELi4ELi1EEEES16_NSI_IJLi1ELi1ELi4ELi2EEEES14_S15_S16_S16_S17_S16_S18_NSI_IJLi0ELi1ELi2ELi3ELi4ELi5EEEELi5ELi4EEEDF16_DF16_NS3_INS4_IJSA_SE_SG_SG_NSB_INS4_IJiNS7_IiLi128EEEEEELb0EEENSF_ISC_EEEEENS4_IJSJ_SK_SL_SZ_SP_S10_EEENS4_IJSN_SO_SP_NSI_IJLi6EEEENSI_IJLi7ELi8EEEENSI_IJLi9EEEEEEENSI_IJLi6ELi7ELi8ELi9EEEElEENS3_INS4_IJSU_SE_SG_SG_S1D_S1E_EEENS4_IJSJ_SL_SK_SZ_SP_S10_EEES1K_S1L_lEENS3_INS4_IJSU_SG_SG_NSB_INS4_IJiSC_NS7_IiLi64EEEEEELb0EEES1S_EEENS4_IJSJ_SL_SK_SZ_S10_EEENS4_IJSN_SZ_S10_NSI_IJLi5ELi6ELi7EEEENSI_IJLi8ELi9ELi10EEEEEEENSI_IJLi5ELi6ELi7ELi8ELi9ELi10EEEElEENS_31BlockToCTileMap_M00_N00_M01_N01ILi128ELi128ES12_Lb0EEELb1ELb0EEEvPKT0_S24_PT1_T2_T3_T4_T5_
	.p2align	8
	.type	_ZN2ck19kernel_gemm_dl_v1r3INS_28GridwiseGemmDl_km_kn_mn_v1r3ILi256EDF16_fDF16_LNS_25InMemoryDataOperationEnumE0ENS_16TensorDescriptorINS_5TupleIJNS_5EmbedINS4_IJiiEEENS4_IJNS_17integral_constantIiLi1EEEiEEELb0EEENS_7UnMergeINS4_IJiNS7_IiLi2EEEEEELb0EEENS_11PassThroughIiEEEEENS4_IJNS_8SequenceIJLi0EEEENSI_IJLi2EEEENSI_IJLi1EEEEEEENS4_IJNSI_IJLi1ELi2EEEENSI_IJLi3ELi4EEEENSI_IJLi5EEEEEEENSI_IJLi3ELi5ELi4EEEElEENS3_INS4_IJNS5_IS6_NS4_IJiS8_EEELb0EEESE_SG_EEENS4_IJSJ_SL_SK_EEESQ_SR_lEENS3_INS4_IJSU_SG_SG_EEESW_NS4_IJSN_NSI_IJLi3EEEENSI_IJLi4EEEEEEESO_lEELi128ELi128ELi16ELi2ELi4ELi4ELi1ENSI_IJLi8ELi2EEEES13_NSI_IJLi2ELi1ELi4ELi2EEEENSI_IJLi8ELi1ELi32ELi1EEEENSI_IJLi0ELi3ELi1ELi2EEEES16_NSI_IJLi1ELi1ELi4ELi1EEEES16_NSI_IJLi1ELi1ELi4ELi2EEEES14_S15_S16_S16_S17_S16_S18_NSI_IJLi0ELi1ELi2ELi3ELi4ELi5EEEELi5ELi4EEEDF16_DF16_NS3_INS4_IJSA_SE_SG_SG_NSB_INS4_IJiNS7_IiLi128EEEEEELb0EEENSF_ISC_EEEEENS4_IJSJ_SK_SL_SZ_SP_S10_EEENS4_IJSN_SO_SP_NSI_IJLi6EEEENSI_IJLi7ELi8EEEENSI_IJLi9EEEEEEENSI_IJLi6ELi7ELi8ELi9EEEElEENS3_INS4_IJSU_SE_SG_SG_S1D_S1E_EEENS4_IJSJ_SL_SK_SZ_SP_S10_EEES1K_S1L_lEENS3_INS4_IJSU_SG_SG_NSB_INS4_IJiSC_NS7_IiLi64EEEEEELb0EEES1S_EEENS4_IJSJ_SL_SK_SZ_S10_EEENS4_IJSN_SZ_S10_NSI_IJLi5ELi6ELi7EEEENSI_IJLi8ELi9ELi10EEEEEEENSI_IJLi5ELi6ELi7ELi8ELi9ELi10EEEElEENS_31BlockToCTileMap_M00_N00_M01_N01ILi128ELi128ES12_Lb0EEELb1ELb0EEEvPKT0_S24_PT1_T2_T3_T4_T5_,@function
_ZN2ck19kernel_gemm_dl_v1r3INS_28GridwiseGemmDl_km_kn_mn_v1r3ILi256EDF16_fDF16_LNS_25InMemoryDataOperationEnumE0ENS_16TensorDescriptorINS_5TupleIJNS_5EmbedINS4_IJiiEEENS4_IJNS_17integral_constantIiLi1EEEiEEELb0EEENS_7UnMergeINS4_IJiNS7_IiLi2EEEEEELb0EEENS_11PassThroughIiEEEEENS4_IJNS_8SequenceIJLi0EEEENSI_IJLi2EEEENSI_IJLi1EEEEEEENS4_IJNSI_IJLi1ELi2EEEENSI_IJLi3ELi4EEEENSI_IJLi5EEEEEEENSI_IJLi3ELi5ELi4EEEElEENS3_INS4_IJNS5_IS6_NS4_IJiS8_EEELb0EEESE_SG_EEENS4_IJSJ_SL_SK_EEESQ_SR_lEENS3_INS4_IJSU_SG_SG_EEESW_NS4_IJSN_NSI_IJLi3EEEENSI_IJLi4EEEEEEESO_lEELi128ELi128ELi16ELi2ELi4ELi4ELi1ENSI_IJLi8ELi2EEEES13_NSI_IJLi2ELi1ELi4ELi2EEEENSI_IJLi8ELi1ELi32ELi1EEEENSI_IJLi0ELi3ELi1ELi2EEEES16_NSI_IJLi1ELi1ELi4ELi1EEEES16_NSI_IJLi1ELi1ELi4ELi2EEEES14_S15_S16_S16_S17_S16_S18_NSI_IJLi0ELi1ELi2ELi3ELi4ELi5EEEELi5ELi4EEEDF16_DF16_NS3_INS4_IJSA_SE_SG_SG_NSB_INS4_IJiNS7_IiLi128EEEEEELb0EEENSF_ISC_EEEEENS4_IJSJ_SK_SL_SZ_SP_S10_EEENS4_IJSN_SO_SP_NSI_IJLi6EEEENSI_IJLi7ELi8EEEENSI_IJLi9EEEEEEENSI_IJLi6ELi7ELi8ELi9EEEElEENS3_INS4_IJSU_SE_SG_SG_S1D_S1E_EEENS4_IJSJ_SL_SK_SZ_SP_S10_EEES1K_S1L_lEENS3_INS4_IJSU_SG_SG_NSB_INS4_IJiSC_NS7_IiLi64EEEEEELb0EEES1S_EEENS4_IJSJ_SL_SK_SZ_S10_EEENS4_IJSN_SZ_S10_NSI_IJLi5ELi6ELi7EEEENSI_IJLi8ELi9ELi10EEEEEEENSI_IJLi5ELi6ELi7ELi8ELi9ELi10EEEElEENS_31BlockToCTileMap_M00_N00_M01_N01ILi128ELi128ES12_Lb0EEELb1ELb0EEEvPKT0_S24_PT1_T2_T3_T4_T5_: ; @_ZN2ck19kernel_gemm_dl_v1r3INS_28GridwiseGemmDl_km_kn_mn_v1r3ILi256EDF16_fDF16_LNS_25InMemoryDataOperationEnumE0ENS_16TensorDescriptorINS_5TupleIJNS_5EmbedINS4_IJiiEEENS4_IJNS_17integral_constantIiLi1EEEiEEELb0EEENS_7UnMergeINS4_IJiNS7_IiLi2EEEEEELb0EEENS_11PassThroughIiEEEEENS4_IJNS_8SequenceIJLi0EEEENSI_IJLi2EEEENSI_IJLi1EEEEEEENS4_IJNSI_IJLi1ELi2EEEENSI_IJLi3ELi4EEEENSI_IJLi5EEEEEEENSI_IJLi3ELi5ELi4EEEElEENS3_INS4_IJNS5_IS6_NS4_IJiS8_EEELb0EEESE_SG_EEENS4_IJSJ_SL_SK_EEESQ_SR_lEENS3_INS4_IJSU_SG_SG_EEESW_NS4_IJSN_NSI_IJLi3EEEENSI_IJLi4EEEEEEESO_lEELi128ELi128ELi16ELi2ELi4ELi4ELi1ENSI_IJLi8ELi2EEEES13_NSI_IJLi2ELi1ELi4ELi2EEEENSI_IJLi8ELi1ELi32ELi1EEEENSI_IJLi0ELi3ELi1ELi2EEEES16_NSI_IJLi1ELi1ELi4ELi1EEEES16_NSI_IJLi1ELi1ELi4ELi2EEEES14_S15_S16_S16_S17_S16_S18_NSI_IJLi0ELi1ELi2ELi3ELi4ELi5EEEELi5ELi4EEEDF16_DF16_NS3_INS4_IJSA_SE_SG_SG_NSB_INS4_IJiNS7_IiLi128EEEEEELb0EEENSF_ISC_EEEEENS4_IJSJ_SK_SL_SZ_SP_S10_EEENS4_IJSN_SO_SP_NSI_IJLi6EEEENSI_IJLi7ELi8EEEENSI_IJLi9EEEEEEENSI_IJLi6ELi7ELi8ELi9EEEElEENS3_INS4_IJSU_SE_SG_SG_S1D_S1E_EEENS4_IJSJ_SL_SK_SZ_SP_S10_EEES1K_S1L_lEENS3_INS4_IJSU_SG_SG_NSB_INS4_IJiSC_NS7_IiLi64EEEEEELb0EEES1S_EEENS4_IJSJ_SL_SK_SZ_S10_EEENS4_IJSN_SZ_S10_NSI_IJLi5ELi6ELi7EEEENSI_IJLi8ELi9ELi10EEEEEEENSI_IJLi5ELi6ELi7ELi8ELi9ELi10EEEElEENS_31BlockToCTileMap_M00_N00_M01_N01ILi128ELi128ES12_Lb0EEELb1ELb0EEEvPKT0_S24_PT1_T2_T3_T4_T5_
; %bb.0:
	s_load_dwordx4 s[12:15], s[4:5], 0x0
	s_load_dwordx2 s[0:1], s[4:5], 0x10
	s_load_dword s7, s[4:5], 0xfc
	s_load_dwordx4 s[8:11], s[4:5], 0x108
	s_load_dwordx4 s[20:23], s[4:5], 0x11c
	;; [unrolled: 1-line block ×3, first 2 shown]
	s_load_dword s36, s[4:5], 0x24
	s_load_dword s18, s[4:5], 0x38
	;; [unrolled: 1-line block ×6, first 2 shown]
	s_load_dwordx2 s[2:3], s[4:5], 0xd0
	s_waitcnt lgkmcnt(0)
	s_load_dword s3, s[4:5], 0xec
                                        ; kill: killed $sgpr4_sgpr5
	s_mul_hi_u32 s4, s23, s6
	s_add_i32 s4, s6, s4
	s_lshr_b32 s4, s4, s27
	s_mul_i32 s5, s4, s11
	s_sub_i32 s5, s6, s5
	s_mul_hi_u32 s6, s4, s22
	s_add_i32 s6, s4, s6
	s_lshr_b32 s6, s6, s26
	s_mul_i32 s10, s6, s10
	s_sub_i32 s4, s4, s10
	;; [unrolled: 5-line block ×4, first 2 shown]
	s_mul_i32 s6, s6, s7
	s_waitcnt lgkmcnt(0)
	s_mul_i32 s8, s8, s3
	s_add_i32 s20, s5, s6
	s_add_i32 s27, s4, s8
	v_lshrrev_b32_e32 v1, 4, v0
	v_lshlrev_b32_e32 v10, 2, v0
	v_and_b32_e32 v1, 14, v1
	v_and_b32_e32 v26, 0x7c, v10
	s_lshl_b32 s17, s27, 7
	s_lshl_b32 s3, s20, 7
	v_or_b32_e32 v2, s17, v26
	v_lshlrev_b32_e32 v5, 1, v1
	v_or_b32_e32 v4, s3, v26
	v_mad_u64_u32 v[2:3], s[4:5], s36, v5, v[2:3]
	v_mad_u64_u32 v[4:5], s[4:5], s28, v5, v[4:5]
	s_mov_b32 s7, 0x20000
	s_lshl_b32 s10, s29, 1
	s_mov_b32 s8, s14
	s_mov_b32 s9, s15
	;; [unrolled: 1-line block ×3, first 2 shown]
	v_lshlrev_b32_e32 v12, 1, v4
	v_add_u32_e32 v13, s28, v4
	s_mov_b32 s5, s13
	v_lshlrev_b32_e32 v14, 1, v13
	s_lshl_b32 s13, s28, 1
	buffer_load_dwordx2 v[6:7], v12, s[8:11], 0 offen
	buffer_load_dwordx2 v[8:9], v14, s[8:11], 0 offen
	v_add_u32_e32 v5, s36, v2
	v_add_lshl_u32 v16, v13, s13, 1
	s_lshl_b32 s6, s19, 1
	s_mov_b32 s4, s12
	v_lshlrev_b32_e32 v3, 1, v2
	v_lshlrev_b32_e32 v11, 1, v5
	s_lshl_b32 s12, s36, 1
	v_add_lshl_u32 v4, s13, v4, 1
	buffer_load_dwordx2 v[18:19], v16, s[8:11], 0 offen
	buffer_load_dwordx2 v[20:21], v4, s[8:11], 0 offen
	;; [unrolled: 1-line block ×4, first 2 shown]
	v_add_lshl_u32 v3, v5, s12, 1
	v_add_lshl_u32 v2, s12, v2, 1
	buffer_load_dwordx2 v[22:23], v3, s[4:7], 0 offen
	buffer_load_dwordx2 v[24:25], v2, s[4:7], 0 offen
	v_lshrrev_b32_e32 v27, 5, v0
	v_lshlrev_b32_e32 v2, 1, v0
	v_lshlrev_b32_e32 v3, 6, v27
	v_and_b32_e32 v4, 0x1f8, v2
	v_and_b32_e32 v2, 0x1fc, v2
	s_mov_b32 s13, 0x7060302
	s_mov_b32 s14, 0x5040100
	v_sub_u32_e32 v3, v4, v3
	v_sub_u32_e32 v2, v2, v4
	v_and_or_b32 v52, v10, 4, v3
	v_lshl_add_u32 v60, v27, 3, v2
	s_sub_i32 s15, s18, 32
	v_and_b32_e32 v0, 31, v0
	s_lshl_b32 s26, s20, 8
	s_mul_i32 s18, s28, 0x84
	s_lshl_b32 s19, s28, 7
	s_mul_i32 s20, s28, 0x86
	s_mul_i32 s21, s28, 0x82
	;; [unrolled: 1-line block ×5, first 2 shown]
	s_add_i32 s18, s26, s18
	s_add_i32 s20, s26, s20
	;; [unrolled: 1-line block ×7, first 2 shown]
	s_lshl_b32 s37, s27, 8
	s_mul_i32 s27, s36, 0x84
	s_mul_i32 s29, s36, 0x86
	;; [unrolled: 1-line block ×6, first 2 shown]
	s_mov_b32 s12, 0
	v_lshlrev_b32_e32 v94, 2, v60
	v_lshlrev_b32_e32 v95, 2, v52
	s_add_i32 s27, s37, s27
	s_add_i32 s29, s37, s29
	;; [unrolled: 1-line block ×6, first 2 shown]
	v_mov_b32_e32 v28, 0
	v_mov_b32_e32 v57, 0
	;; [unrolled: 1-line block ×23, first 2 shown]
	s_waitcnt vmcnt(6)
	v_perm_b32 v3, v8, v6, s13
	v_perm_b32 v2, v8, v6, s14
	v_perm_b32 v4, v9, v7, s14
	v_perm_b32 v5, v9, v7, s13
	v_mov_b32_e32 v79, 0
	v_mov_b32_e32 v81, 0
	;; [unrolled: 1-line block ×3, first 2 shown]
	s_waitcnt vmcnt(4)
	v_perm_b32 v7, v18, v20, s13
	v_perm_b32 v6, v18, v20, s14
	v_lshlrev_b32_e32 v18, 2, v26
	v_lshl_or_b32 v96, v1, 9, v18
	v_mul_lo_u32 v1, s28, v27
	s_lshl_b32 s28, s28, 6
	v_add_lshl_u32 v100, v1, v0, 3
	s_add_i32 s26, s26, s28
	v_mul_lo_u32 v1, s36, v27
	s_lshl_b32 s28, s36, 7
	s_lshl_b32 s36, s36, 6
	v_perm_b32 v9, v19, v21, s13
	s_waitcnt vmcnt(2)
	v_perm_b32 v11, v14, v12, s13
	v_perm_b32 v10, v14, v12, s14
	;; [unrolled: 1-line block ×5, first 2 shown]
	v_or_b32_e32 v97, 0x4000, v96
	v_or_b32_e32 v98, 0x2000, v96
	;; [unrolled: 1-line block ×3, first 2 shown]
	v_add_lshl_u32 v101, v1, v0, 3
	s_add_i32 s31, s37, s28
	s_add_i32 s36, s37, s36
	v_mov_b32_e32 v88, 0
	v_mov_b32_e32 v87, 0
	;; [unrolled: 1-line block ×38, first 2 shown]
	s_waitcnt vmcnt(0)
	v_perm_b32 v17, v23, v25, s13
	v_perm_b32 v15, v22, v24, s13
	;; [unrolled: 1-line block ×4, first 2 shown]
	ds_write_b128 v96, v[10:13]
	ds_write_b128 v96, v[14:17] offset:512
	ds_write_b128 v96, v[2:5] offset:16384
	;; [unrolled: 1-line block ×3, first 2 shown]
.LBB2_1:                                ; =>This Inner Loop Header: Depth=1
	v_add_u32_e32 v0, s36, v101
	buffer_load_dwordx2 v[2:3], v0, s[4:7], 0 offen
	v_add_u32_e32 v0, s35, v101
	buffer_load_dwordx2 v[4:5], v0, s[4:7], 0 offen
	s_add_i32 s12, s12, 32
	s_add_i32 s35, s35, s28
	;; [unrolled: 1-line block ×3, first 2 shown]
	s_waitcnt vmcnt(0)
	v_perm_b32 v1, v4, v2, s13
	v_perm_b32 v0, v4, v2, s14
	v_add_u32_e32 v4, s34, v101
	buffer_load_dwordx2 v[6:7], v4, s[4:7], 0 offen
	v_add_u32_e32 v4, s33, v101
	buffer_load_dwordx2 v[8:9], v4, s[4:7], 0 offen
	v_perm_b32 v2, v5, v3, s14
	v_perm_b32 v3, v5, v3, s13
	s_add_i32 s33, s33, s28
	s_add_i32 s34, s34, s28
	s_waitcnt vmcnt(0)
	v_perm_b32 v5, v6, v8, s13
	v_perm_b32 v4, v6, v8, s14
	v_add_u32_e32 v8, s26, v100
	buffer_load_dwordx2 v[10:11], v8, s[8:11], 0 offen
	v_add_u32_e32 v8, s25, v100
	buffer_load_dwordx2 v[12:13], v8, s[8:11], 0 offen
	v_perm_b32 v6, v7, v9, s14
	v_perm_b32 v7, v7, v9, s13
	s_add_i32 s25, s25, s19
	s_add_i32 s26, s26, s19
	s_waitcnt vmcnt(0)
	v_perm_b32 v9, v12, v10, s13
	v_perm_b32 v8, v12, v10, s14
	v_add_u32_e32 v12, s24, v100
	buffer_load_dwordx2 v[14:15], v12, s[8:11], 0 offen
	v_add_u32_e32 v12, s23, v100
	buffer_load_dwordx2 v[16:17], v12, s[8:11], 0 offen
	v_perm_b32 v10, v13, v11, s14
	v_perm_b32 v11, v13, v11, s13
	s_waitcnt lgkmcnt(0)
	s_barrier
	s_add_i32 s23, s23, s19
	s_add_i32 s24, s24, s19
	s_waitcnt vmcnt(0)
	v_perm_b32 v13, v14, v16, s13
	v_perm_b32 v12, v14, v16, s14
	;; [unrolled: 1-line block ×4, first 2 shown]
	ds_read_b128 v[16:19], v94
	ds_read_b128 v[20:23], v95 offset:16384
	ds_read_b128 v[24:27], v95 offset:16640
	;; [unrolled: 1-line block ×3, first 2 shown]
	s_waitcnt lgkmcnt(2)
	v_dot2c_f32_f16_e32 v93, v16, v20
	v_dot2c_f32_f16_e32 v91, v16, v21
	;; [unrolled: 1-line block ×16, first 2 shown]
	s_waitcnt lgkmcnt(1)
	v_dot2c_f32_f16_e32 v89, v16, v24
	v_dot2c_f32_f16_e32 v87, v16, v25
	;; [unrolled: 1-line block ×16, first 2 shown]
	ds_read_b128 v[16:19], v94 offset:512
	s_waitcnt lgkmcnt(1)
	v_dot2c_f32_f16_e32 v28, v102, v20
	v_dot2c_f32_f16_e32 v29, v102, v21
	v_dot2c_f32_f16_e32 v30, v102, v22
	v_dot2c_f32_f16_e32 v31, v102, v23
	v_dot2c_f32_f16_e32 v41, v103, v20
	v_dot2c_f32_f16_e32 v40, v103, v21
	v_dot2c_f32_f16_e32 v42, v103, v22
	v_dot2c_f32_f16_e32 v43, v103, v23
	v_dot2c_f32_f16_e32 v45, v104, v20
	v_dot2c_f32_f16_e32 v44, v104, v21
	v_dot2c_f32_f16_e32 v46, v104, v22
	v_dot2c_f32_f16_e32 v47, v104, v23
	v_dot2c_f32_f16_e32 v71, v105, v20
	v_dot2c_f32_f16_e32 v70, v105, v21
	v_dot2c_f32_f16_e32 v72, v105, v22
	v_dot2c_f32_f16_e32 v73, v105, v23
	ds_read_b128 v[20:23], v95 offset:16896
	v_dot2c_f32_f16_e32 v33, v102, v24
	v_dot2c_f32_f16_e32 v32, v102, v25
	;; [unrolled: 1-line block ×16, first 2 shown]
	ds_read_b128 v[24:27], v95 offset:17152
	ds_read_b128 v[102:105], v94 offset:768
	s_waitcnt lgkmcnt(2)
	v_dot2c_f32_f16_e32 v93, v16, v20
	v_dot2c_f32_f16_e32 v91, v16, v21
	;; [unrolled: 1-line block ×16, first 2 shown]
	s_waitcnt lgkmcnt(1)
	v_dot2c_f32_f16_e32 v89, v16, v24
	v_dot2c_f32_f16_e32 v87, v16, v25
	;; [unrolled: 1-line block ×16, first 2 shown]
	ds_read_b128 v[16:19], v94 offset:1024
	s_waitcnt lgkmcnt(1)
	v_dot2c_f32_f16_e32 v28, v102, v20
	v_dot2c_f32_f16_e32 v29, v102, v21
	;; [unrolled: 1-line block ×16, first 2 shown]
	ds_read_b128 v[20:23], v95 offset:17408
	v_dot2c_f32_f16_e32 v33, v102, v24
	v_dot2c_f32_f16_e32 v32, v102, v25
	;; [unrolled: 1-line block ×16, first 2 shown]
	ds_read_b128 v[24:27], v95 offset:17664
	ds_read_b128 v[102:105], v94 offset:1280
	s_waitcnt lgkmcnt(2)
	v_dot2c_f32_f16_e32 v93, v16, v20
	v_dot2c_f32_f16_e32 v91, v16, v21
	;; [unrolled: 1-line block ×16, first 2 shown]
	s_waitcnt lgkmcnt(1)
	v_dot2c_f32_f16_e32 v89, v16, v24
	v_dot2c_f32_f16_e32 v87, v16, v25
	;; [unrolled: 1-line block ×16, first 2 shown]
	ds_read_b128 v[16:19], v94 offset:1536
	s_waitcnt lgkmcnt(1)
	v_dot2c_f32_f16_e32 v28, v102, v20
	v_dot2c_f32_f16_e32 v29, v102, v21
	;; [unrolled: 1-line block ×16, first 2 shown]
	ds_read_b128 v[20:23], v95 offset:17920
	v_dot2c_f32_f16_e32 v33, v102, v24
	v_dot2c_f32_f16_e32 v32, v102, v25
	;; [unrolled: 1-line block ×16, first 2 shown]
	ds_read_b128 v[24:27], v95 offset:18176
	ds_read_b128 v[102:105], v94 offset:1792
	s_waitcnt lgkmcnt(2)
	v_dot2c_f32_f16_e32 v93, v16, v20
	v_dot2c_f32_f16_e32 v91, v16, v21
	v_dot2c_f32_f16_e32 v92, v16, v22
	v_dot2c_f32_f16_e32 v90, v16, v23
	v_dot2c_f32_f16_e32 v81, v17, v20
	v_dot2c_f32_f16_e32 v79, v17, v21
	v_dot2c_f32_f16_e32 v80, v17, v22
	v_dot2c_f32_f16_e32 v78, v17, v23
	v_dot2c_f32_f16_e32 v77, v18, v20
	v_dot2c_f32_f16_e32 v75, v18, v21
	v_dot2c_f32_f16_e32 v76, v18, v22
	v_dot2c_f32_f16_e32 v74, v18, v23
	v_dot2c_f32_f16_e32 v53, v19, v20
	v_dot2c_f32_f16_e32 v49, v19, v21
	v_dot2c_f32_f16_e32 v50, v19, v22
	v_dot2c_f32_f16_e32 v48, v19, v23
	s_waitcnt lgkmcnt(1)
	v_dot2c_f32_f16_e32 v89, v16, v24
	v_dot2c_f32_f16_e32 v87, v16, v25
	;; [unrolled: 1-line block ×16, first 2 shown]
	ds_read_b128 v[16:19], v94 offset:2048
	s_waitcnt lgkmcnt(1)
	v_dot2c_f32_f16_e32 v28, v102, v20
	v_dot2c_f32_f16_e32 v29, v102, v21
	;; [unrolled: 1-line block ×16, first 2 shown]
	ds_read_b128 v[20:23], v95 offset:18432
	v_dot2c_f32_f16_e32 v33, v102, v24
	v_dot2c_f32_f16_e32 v32, v102, v25
	;; [unrolled: 1-line block ×16, first 2 shown]
	ds_read_b128 v[24:27], v95 offset:18688
	ds_read_b128 v[102:105], v94 offset:2304
	s_waitcnt lgkmcnt(2)
	v_dot2c_f32_f16_e32 v93, v16, v20
	v_dot2c_f32_f16_e32 v91, v16, v21
	;; [unrolled: 1-line block ×16, first 2 shown]
	s_waitcnt lgkmcnt(1)
	v_dot2c_f32_f16_e32 v89, v16, v24
	v_dot2c_f32_f16_e32 v87, v16, v25
	;; [unrolled: 1-line block ×16, first 2 shown]
	ds_read_b128 v[16:19], v94 offset:2560
	s_waitcnt lgkmcnt(1)
	v_dot2c_f32_f16_e32 v28, v102, v20
	v_dot2c_f32_f16_e32 v29, v102, v21
	;; [unrolled: 1-line block ×16, first 2 shown]
	ds_read_b128 v[20:23], v95 offset:18944
	v_dot2c_f32_f16_e32 v33, v102, v24
	v_dot2c_f32_f16_e32 v32, v102, v25
	;; [unrolled: 1-line block ×16, first 2 shown]
	ds_read_b128 v[24:27], v95 offset:19200
	ds_read_b128 v[102:105], v94 offset:2816
	s_waitcnt lgkmcnt(2)
	v_dot2c_f32_f16_e32 v93, v16, v20
	v_dot2c_f32_f16_e32 v91, v16, v21
	;; [unrolled: 1-line block ×16, first 2 shown]
	s_waitcnt lgkmcnt(1)
	v_dot2c_f32_f16_e32 v89, v16, v24
	v_dot2c_f32_f16_e32 v87, v16, v25
	;; [unrolled: 1-line block ×16, first 2 shown]
	ds_read_b128 v[16:19], v94 offset:3072
	s_waitcnt lgkmcnt(1)
	v_dot2c_f32_f16_e32 v28, v102, v20
	v_dot2c_f32_f16_e32 v29, v102, v21
	;; [unrolled: 1-line block ×16, first 2 shown]
	ds_read_b128 v[20:23], v95 offset:19456
	v_dot2c_f32_f16_e32 v33, v102, v24
	v_dot2c_f32_f16_e32 v32, v102, v25
	;; [unrolled: 1-line block ×16, first 2 shown]
	ds_read_b128 v[24:27], v95 offset:19712
	ds_read_b128 v[102:105], v94 offset:3328
	s_waitcnt lgkmcnt(2)
	v_dot2c_f32_f16_e32 v93, v16, v20
	v_dot2c_f32_f16_e32 v91, v16, v21
	;; [unrolled: 1-line block ×16, first 2 shown]
	s_waitcnt lgkmcnt(1)
	v_dot2c_f32_f16_e32 v89, v16, v24
	v_dot2c_f32_f16_e32 v87, v16, v25
	;; [unrolled: 1-line block ×16, first 2 shown]
	ds_read_b128 v[16:19], v94 offset:3584
	s_waitcnt lgkmcnt(1)
	v_dot2c_f32_f16_e32 v28, v102, v20
	v_dot2c_f32_f16_e32 v29, v102, v21
	;; [unrolled: 1-line block ×16, first 2 shown]
	ds_read_b128 v[20:23], v95 offset:19968
	v_dot2c_f32_f16_e32 v33, v102, v24
	v_dot2c_f32_f16_e32 v32, v102, v25
	;; [unrolled: 1-line block ×16, first 2 shown]
	ds_read_b128 v[24:27], v95 offset:20224
	ds_read_b128 v[102:105], v94 offset:3840
	s_waitcnt lgkmcnt(2)
	v_dot2c_f32_f16_e32 v93, v16, v20
	v_dot2c_f32_f16_e32 v91, v16, v21
	v_dot2c_f32_f16_e32 v92, v16, v22
	v_dot2c_f32_f16_e32 v90, v16, v23
	v_dot2c_f32_f16_e32 v81, v17, v20
	v_dot2c_f32_f16_e32 v79, v17, v21
	v_dot2c_f32_f16_e32 v80, v17, v22
	v_dot2c_f32_f16_e32 v78, v17, v23
	v_dot2c_f32_f16_e32 v77, v18, v20
	v_dot2c_f32_f16_e32 v75, v18, v21
	v_dot2c_f32_f16_e32 v76, v18, v22
	v_dot2c_f32_f16_e32 v74, v18, v23
	v_dot2c_f32_f16_e32 v53, v19, v20
	v_dot2c_f32_f16_e32 v49, v19, v21
	v_dot2c_f32_f16_e32 v50, v19, v22
	v_dot2c_f32_f16_e32 v48, v19, v23
	s_waitcnt lgkmcnt(1)
	v_dot2c_f32_f16_e32 v89, v16, v24
	v_dot2c_f32_f16_e32 v87, v16, v25
	;; [unrolled: 1-line block ×16, first 2 shown]
	ds_read_b128 v[16:19], v94 offset:4096
	s_waitcnt lgkmcnt(1)
	v_dot2c_f32_f16_e32 v28, v102, v20
	v_dot2c_f32_f16_e32 v29, v102, v21
	;; [unrolled: 1-line block ×16, first 2 shown]
	ds_read_b128 v[20:23], v95 offset:20480
	v_dot2c_f32_f16_e32 v33, v102, v24
	v_dot2c_f32_f16_e32 v32, v102, v25
	;; [unrolled: 1-line block ×16, first 2 shown]
	ds_read_b128 v[24:27], v95 offset:20736
	ds_read_b128 v[102:105], v94 offset:4352
	s_waitcnt lgkmcnt(2)
	v_dot2c_f32_f16_e32 v93, v16, v20
	v_dot2c_f32_f16_e32 v91, v16, v21
	;; [unrolled: 1-line block ×16, first 2 shown]
	s_waitcnt lgkmcnt(1)
	v_dot2c_f32_f16_e32 v89, v16, v24
	v_dot2c_f32_f16_e32 v87, v16, v25
	;; [unrolled: 1-line block ×16, first 2 shown]
	ds_read_b128 v[16:19], v94 offset:4608
	s_waitcnt lgkmcnt(1)
	v_dot2c_f32_f16_e32 v28, v102, v20
	v_dot2c_f32_f16_e32 v29, v102, v21
	;; [unrolled: 1-line block ×16, first 2 shown]
	ds_read_b128 v[20:23], v95 offset:20992
	v_dot2c_f32_f16_e32 v33, v102, v24
	v_dot2c_f32_f16_e32 v32, v102, v25
	;; [unrolled: 1-line block ×16, first 2 shown]
	ds_read_b128 v[24:27], v95 offset:21248
	ds_read_b128 v[102:105], v94 offset:4864
	s_waitcnt lgkmcnt(2)
	v_dot2c_f32_f16_e32 v93, v16, v20
	v_dot2c_f32_f16_e32 v91, v16, v21
	;; [unrolled: 1-line block ×16, first 2 shown]
	s_waitcnt lgkmcnt(1)
	v_dot2c_f32_f16_e32 v89, v16, v24
	v_dot2c_f32_f16_e32 v87, v16, v25
	v_dot2c_f32_f16_e32 v88, v16, v26
	v_dot2c_f32_f16_e32 v86, v16, v27
	v_dot2c_f32_f16_e32 v85, v17, v24
	v_dot2c_f32_f16_e32 v83, v17, v25
	v_dot2c_f32_f16_e32 v84, v17, v26
	v_dot2c_f32_f16_e32 v82, v17, v27
	v_dot2c_f32_f16_e32 v69, v18, v24
	v_dot2c_f32_f16_e32 v67, v18, v25
	v_dot2c_f32_f16_e32 v68, v18, v26
	v_dot2c_f32_f16_e32 v66, v18, v27
	v_dot2c_f32_f16_e32 v61, v19, v24
	v_dot2c_f32_f16_e32 v58, v19, v25
	v_dot2c_f32_f16_e32 v59, v19, v26
	v_dot2c_f32_f16_e32 v57, v19, v27
	ds_read_b128 v[16:19], v94 offset:5120
	s_waitcnt lgkmcnt(1)
	v_dot2c_f32_f16_e32 v28, v102, v20
	v_dot2c_f32_f16_e32 v29, v102, v21
	;; [unrolled: 1-line block ×16, first 2 shown]
	ds_read_b128 v[20:23], v95 offset:21504
	v_dot2c_f32_f16_e32 v33, v102, v24
	v_dot2c_f32_f16_e32 v32, v102, v25
	;; [unrolled: 1-line block ×16, first 2 shown]
	ds_read_b128 v[24:27], v95 offset:21760
	ds_read_b128 v[102:105], v94 offset:5376
	s_waitcnt lgkmcnt(2)
	v_dot2c_f32_f16_e32 v93, v16, v20
	v_dot2c_f32_f16_e32 v91, v16, v21
	;; [unrolled: 1-line block ×16, first 2 shown]
	s_waitcnt lgkmcnt(1)
	v_dot2c_f32_f16_e32 v89, v16, v24
	v_dot2c_f32_f16_e32 v87, v16, v25
	;; [unrolled: 1-line block ×16, first 2 shown]
	ds_read_b128 v[16:19], v94 offset:5632
	s_waitcnt lgkmcnt(1)
	v_dot2c_f32_f16_e32 v28, v102, v20
	v_dot2c_f32_f16_e32 v29, v102, v21
	;; [unrolled: 1-line block ×16, first 2 shown]
	ds_read_b128 v[20:23], v95 offset:22016
	v_dot2c_f32_f16_e32 v33, v102, v24
	v_dot2c_f32_f16_e32 v32, v102, v25
	;; [unrolled: 1-line block ×16, first 2 shown]
	ds_read_b128 v[24:27], v95 offset:22272
	ds_read_b128 v[102:105], v94 offset:5888
	s_waitcnt lgkmcnt(2)
	v_dot2c_f32_f16_e32 v93, v16, v20
	v_dot2c_f32_f16_e32 v91, v16, v21
	;; [unrolled: 1-line block ×16, first 2 shown]
	s_waitcnt lgkmcnt(1)
	v_dot2c_f32_f16_e32 v89, v16, v24
	v_dot2c_f32_f16_e32 v87, v16, v25
	;; [unrolled: 1-line block ×16, first 2 shown]
	ds_read_b128 v[16:19], v94 offset:6144
	s_waitcnt lgkmcnt(1)
	v_dot2c_f32_f16_e32 v28, v102, v20
	v_dot2c_f32_f16_e32 v29, v102, v21
	;; [unrolled: 1-line block ×16, first 2 shown]
	ds_read_b128 v[20:23], v95 offset:22528
	v_dot2c_f32_f16_e32 v33, v102, v24
	v_dot2c_f32_f16_e32 v32, v102, v25
	;; [unrolled: 1-line block ×16, first 2 shown]
	ds_read_b128 v[24:27], v95 offset:22784
	ds_read_b128 v[102:105], v94 offset:6400
	s_waitcnt lgkmcnt(2)
	v_dot2c_f32_f16_e32 v93, v16, v20
	v_dot2c_f32_f16_e32 v91, v16, v21
	;; [unrolled: 1-line block ×16, first 2 shown]
	s_waitcnt lgkmcnt(1)
	v_dot2c_f32_f16_e32 v89, v16, v24
	v_dot2c_f32_f16_e32 v87, v16, v25
	;; [unrolled: 1-line block ×16, first 2 shown]
	ds_read_b128 v[16:19], v94 offset:6656
	s_waitcnt lgkmcnt(1)
	v_dot2c_f32_f16_e32 v28, v102, v20
	v_dot2c_f32_f16_e32 v29, v102, v21
	;; [unrolled: 1-line block ×16, first 2 shown]
	ds_read_b128 v[20:23], v95 offset:23040
	v_dot2c_f32_f16_e32 v33, v102, v24
	v_dot2c_f32_f16_e32 v32, v102, v25
	;; [unrolled: 1-line block ×16, first 2 shown]
	ds_read_b128 v[24:27], v95 offset:23296
	ds_read_b128 v[102:105], v94 offset:6912
	s_waitcnt lgkmcnt(2)
	v_dot2c_f32_f16_e32 v93, v16, v20
	v_dot2c_f32_f16_e32 v91, v16, v21
	;; [unrolled: 1-line block ×16, first 2 shown]
	s_waitcnt lgkmcnt(1)
	v_dot2c_f32_f16_e32 v89, v16, v24
	v_dot2c_f32_f16_e32 v87, v16, v25
	;; [unrolled: 1-line block ×16, first 2 shown]
	ds_read_b128 v[16:19], v94 offset:7168
	s_waitcnt lgkmcnt(1)
	v_dot2c_f32_f16_e32 v28, v102, v20
	v_dot2c_f32_f16_e32 v29, v102, v21
	;; [unrolled: 1-line block ×16, first 2 shown]
	ds_read_b128 v[20:23], v95 offset:23552
	v_dot2c_f32_f16_e32 v33, v102, v24
	v_dot2c_f32_f16_e32 v32, v102, v25
	;; [unrolled: 1-line block ×16, first 2 shown]
	ds_read_b128 v[24:27], v95 offset:23808
	ds_read_b128 v[102:105], v94 offset:7424
	s_waitcnt lgkmcnt(2)
	v_dot2c_f32_f16_e32 v93, v16, v20
	v_dot2c_f32_f16_e32 v91, v16, v21
	;; [unrolled: 1-line block ×16, first 2 shown]
	s_waitcnt lgkmcnt(1)
	v_dot2c_f32_f16_e32 v89, v16, v24
	v_dot2c_f32_f16_e32 v87, v16, v25
	v_dot2c_f32_f16_e32 v88, v16, v26
	v_dot2c_f32_f16_e32 v86, v16, v27
	v_dot2c_f32_f16_e32 v85, v17, v24
	v_dot2c_f32_f16_e32 v83, v17, v25
	v_dot2c_f32_f16_e32 v84, v17, v26
	v_dot2c_f32_f16_e32 v82, v17, v27
	v_dot2c_f32_f16_e32 v69, v18, v24
	v_dot2c_f32_f16_e32 v67, v18, v25
	v_dot2c_f32_f16_e32 v68, v18, v26
	v_dot2c_f32_f16_e32 v66, v18, v27
	v_dot2c_f32_f16_e32 v61, v19, v24
	v_dot2c_f32_f16_e32 v58, v19, v25
	v_dot2c_f32_f16_e32 v59, v19, v26
	v_dot2c_f32_f16_e32 v57, v19, v27
	ds_read_b128 v[16:19], v94 offset:7680
	s_waitcnt lgkmcnt(1)
	v_dot2c_f32_f16_e32 v28, v102, v20
	v_dot2c_f32_f16_e32 v29, v102, v21
	;; [unrolled: 1-line block ×16, first 2 shown]
	ds_read_b128 v[20:23], v95 offset:24064
	v_dot2c_f32_f16_e32 v33, v102, v24
	v_dot2c_f32_f16_e32 v32, v102, v25
	;; [unrolled: 1-line block ×16, first 2 shown]
	ds_read_b128 v[24:27], v95 offset:24320
	ds_read_b128 v[102:105], v94 offset:7936
	ds_write_b128 v96, v[0:3] offset:8192
	ds_write_b128 v98, v[4:7] offset:512
	;; [unrolled: 1-line block ×4, first 2 shown]
	v_add_u32_e32 v0, s31, v101
	buffer_load_dwordx2 v[2:3], v0, s[4:7], 0 offen
	v_add_u32_e32 v0, s30, v101
	buffer_load_dwordx2 v[4:5], v0, s[4:7], 0 offen
	s_waitcnt lgkmcnt(6)
	v_dot2c_f32_f16_e32 v93, v16, v20
	v_dot2c_f32_f16_e32 v91, v16, v21
	;; [unrolled: 1-line block ×8, first 2 shown]
	s_waitcnt lgkmcnt(5)
	v_dot2c_f32_f16_e32 v89, v16, v24
	v_dot2c_f32_f16_e32 v87, v16, v25
	;; [unrolled: 1-line block ×24, first 2 shown]
	s_waitcnt lgkmcnt(4)
	v_dot2c_f32_f16_e32 v28, v102, v20
	v_dot2c_f32_f16_e32 v29, v102, v21
	;; [unrolled: 1-line block ×32, first 2 shown]
	s_add_i32 s30, s30, s28
	s_add_i32 s31, s31, s28
	s_waitcnt vmcnt(0)
	v_perm_b32 v1, v4, v2, s13
	v_perm_b32 v0, v4, v2, s14
	v_add_u32_e32 v4, s29, v101
	buffer_load_dwordx2 v[6:7], v4, s[4:7], 0 offen
	v_add_u32_e32 v4, s27, v101
	buffer_load_dwordx2 v[8:9], v4, s[4:7], 0 offen
	v_perm_b32 v2, v5, v3, s14
	v_perm_b32 v3, v5, v3, s13
	s_add_i32 s27, s27, s28
	s_add_i32 s29, s29, s28
	s_waitcnt vmcnt(0)
	v_perm_b32 v5, v6, v8, s13
	v_perm_b32 v4, v6, v8, s14
	v_add_u32_e32 v8, s22, v100
	buffer_load_dwordx2 v[10:11], v8, s[8:11], 0 offen
	v_add_u32_e32 v8, s21, v100
	buffer_load_dwordx2 v[12:13], v8, s[8:11], 0 offen
	v_perm_b32 v6, v7, v9, s14
	v_perm_b32 v7, v7, v9, s13
	;; [unrolled: 11-line block ×3, first 2 shown]
	s_waitcnt lgkmcnt(0)
	s_barrier
	s_add_i32 s18, s18, s19
	s_add_i32 s20, s20, s19
	s_cmp_lt_i32 s12, s15
	s_waitcnt vmcnt(0)
	v_perm_b32 v13, v14, v16, s13
	v_perm_b32 v12, v14, v16, s14
	;; [unrolled: 1-line block ×4, first 2 shown]
	ds_read_b128 v[16:19], v94 offset:8192
	ds_read_b128 v[20:23], v95 offset:24576
	;; [unrolled: 1-line block ×4, first 2 shown]
	s_waitcnt lgkmcnt(2)
	v_dot2c_f32_f16_e32 v93, v16, v20
	v_dot2c_f32_f16_e32 v91, v16, v21
	;; [unrolled: 1-line block ×16, first 2 shown]
	s_waitcnt lgkmcnt(1)
	v_dot2c_f32_f16_e32 v89, v16, v24
	v_dot2c_f32_f16_e32 v87, v16, v25
	;; [unrolled: 1-line block ×16, first 2 shown]
	ds_read_b128 v[16:19], v94 offset:8704
	s_waitcnt lgkmcnt(1)
	v_dot2c_f32_f16_e32 v28, v102, v20
	v_dot2c_f32_f16_e32 v29, v102, v21
	v_dot2c_f32_f16_e32 v30, v102, v22
	v_dot2c_f32_f16_e32 v31, v102, v23
	v_dot2c_f32_f16_e32 v41, v103, v20
	v_dot2c_f32_f16_e32 v40, v103, v21
	v_dot2c_f32_f16_e32 v42, v103, v22
	v_dot2c_f32_f16_e32 v43, v103, v23
	v_dot2c_f32_f16_e32 v45, v104, v20
	v_dot2c_f32_f16_e32 v44, v104, v21
	v_dot2c_f32_f16_e32 v46, v104, v22
	v_dot2c_f32_f16_e32 v47, v104, v23
	v_dot2c_f32_f16_e32 v71, v105, v20
	v_dot2c_f32_f16_e32 v70, v105, v21
	v_dot2c_f32_f16_e32 v72, v105, v22
	v_dot2c_f32_f16_e32 v73, v105, v23
	ds_read_b128 v[20:23], v95 offset:25088
	v_dot2c_f32_f16_e32 v33, v102, v24
	v_dot2c_f32_f16_e32 v32, v102, v25
	;; [unrolled: 1-line block ×16, first 2 shown]
	ds_read_b128 v[24:27], v95 offset:25344
	ds_read_b128 v[102:105], v94 offset:8960
	s_waitcnt lgkmcnt(2)
	v_dot2c_f32_f16_e32 v93, v16, v20
	v_dot2c_f32_f16_e32 v91, v16, v21
	;; [unrolled: 1-line block ×16, first 2 shown]
	s_waitcnt lgkmcnt(1)
	v_dot2c_f32_f16_e32 v89, v16, v24
	v_dot2c_f32_f16_e32 v87, v16, v25
	;; [unrolled: 1-line block ×16, first 2 shown]
	ds_read_b128 v[16:19], v94 offset:9216
	s_waitcnt lgkmcnt(1)
	v_dot2c_f32_f16_e32 v28, v102, v20
	v_dot2c_f32_f16_e32 v29, v102, v21
	;; [unrolled: 1-line block ×16, first 2 shown]
	ds_read_b128 v[20:23], v95 offset:25600
	v_dot2c_f32_f16_e32 v33, v102, v24
	v_dot2c_f32_f16_e32 v32, v102, v25
	;; [unrolled: 1-line block ×16, first 2 shown]
	ds_read_b128 v[24:27], v95 offset:25856
	ds_read_b128 v[102:105], v94 offset:9472
	s_waitcnt lgkmcnt(2)
	v_dot2c_f32_f16_e32 v93, v16, v20
	v_dot2c_f32_f16_e32 v91, v16, v21
	v_dot2c_f32_f16_e32 v92, v16, v22
	v_dot2c_f32_f16_e32 v90, v16, v23
	v_dot2c_f32_f16_e32 v81, v17, v20
	v_dot2c_f32_f16_e32 v79, v17, v21
	v_dot2c_f32_f16_e32 v80, v17, v22
	v_dot2c_f32_f16_e32 v78, v17, v23
	v_dot2c_f32_f16_e32 v77, v18, v20
	v_dot2c_f32_f16_e32 v75, v18, v21
	v_dot2c_f32_f16_e32 v76, v18, v22
	v_dot2c_f32_f16_e32 v74, v18, v23
	v_dot2c_f32_f16_e32 v53, v19, v20
	v_dot2c_f32_f16_e32 v49, v19, v21
	v_dot2c_f32_f16_e32 v50, v19, v22
	v_dot2c_f32_f16_e32 v48, v19, v23
	s_waitcnt lgkmcnt(1)
	v_dot2c_f32_f16_e32 v89, v16, v24
	v_dot2c_f32_f16_e32 v87, v16, v25
	;; [unrolled: 1-line block ×16, first 2 shown]
	ds_read_b128 v[16:19], v94 offset:9728
	s_waitcnt lgkmcnt(1)
	v_dot2c_f32_f16_e32 v28, v102, v20
	v_dot2c_f32_f16_e32 v29, v102, v21
	;; [unrolled: 1-line block ×16, first 2 shown]
	ds_read_b128 v[20:23], v95 offset:26112
	v_dot2c_f32_f16_e32 v33, v102, v24
	v_dot2c_f32_f16_e32 v32, v102, v25
	;; [unrolled: 1-line block ×16, first 2 shown]
	ds_read_b128 v[24:27], v95 offset:26368
	ds_read_b128 v[102:105], v94 offset:9984
	s_waitcnt lgkmcnt(2)
	v_dot2c_f32_f16_e32 v93, v16, v20
	v_dot2c_f32_f16_e32 v91, v16, v21
	;; [unrolled: 1-line block ×16, first 2 shown]
	s_waitcnt lgkmcnt(1)
	v_dot2c_f32_f16_e32 v89, v16, v24
	v_dot2c_f32_f16_e32 v87, v16, v25
	;; [unrolled: 1-line block ×16, first 2 shown]
	ds_read_b128 v[16:19], v94 offset:10240
	s_waitcnt lgkmcnt(1)
	v_dot2c_f32_f16_e32 v28, v102, v20
	v_dot2c_f32_f16_e32 v29, v102, v21
	;; [unrolled: 1-line block ×16, first 2 shown]
	ds_read_b128 v[20:23], v95 offset:26624
	v_dot2c_f32_f16_e32 v33, v102, v24
	v_dot2c_f32_f16_e32 v32, v102, v25
	v_dot2c_f32_f16_e32 v34, v102, v26
	v_dot2c_f32_f16_e32 v35, v102, v27
	v_dot2c_f32_f16_e32 v37, v103, v24
	v_dot2c_f32_f16_e32 v36, v103, v25
	v_dot2c_f32_f16_e32 v38, v103, v26
	v_dot2c_f32_f16_e32 v39, v103, v27
	v_dot2c_f32_f16_e32 v54, v104, v24
	v_dot2c_f32_f16_e32 v51, v104, v25
	v_dot2c_f32_f16_e32 v55, v104, v26
	v_dot2c_f32_f16_e32 v56, v104, v27
	v_dot2c_f32_f16_e32 v63, v105, v24
	v_dot2c_f32_f16_e32 v62, v105, v25
	v_dot2c_f32_f16_e32 v64, v105, v26
	v_dot2c_f32_f16_e32 v65, v105, v27
	ds_read_b128 v[24:27], v95 offset:26880
	ds_read_b128 v[102:105], v94 offset:10496
	s_waitcnt lgkmcnt(2)
	v_dot2c_f32_f16_e32 v93, v16, v20
	v_dot2c_f32_f16_e32 v91, v16, v21
	;; [unrolled: 1-line block ×16, first 2 shown]
	s_waitcnt lgkmcnt(1)
	v_dot2c_f32_f16_e32 v89, v16, v24
	v_dot2c_f32_f16_e32 v87, v16, v25
	v_dot2c_f32_f16_e32 v88, v16, v26
	v_dot2c_f32_f16_e32 v86, v16, v27
	v_dot2c_f32_f16_e32 v85, v17, v24
	v_dot2c_f32_f16_e32 v83, v17, v25
	v_dot2c_f32_f16_e32 v84, v17, v26
	v_dot2c_f32_f16_e32 v82, v17, v27
	v_dot2c_f32_f16_e32 v69, v18, v24
	v_dot2c_f32_f16_e32 v67, v18, v25
	v_dot2c_f32_f16_e32 v68, v18, v26
	v_dot2c_f32_f16_e32 v66, v18, v27
	v_dot2c_f32_f16_e32 v61, v19, v24
	v_dot2c_f32_f16_e32 v58, v19, v25
	v_dot2c_f32_f16_e32 v59, v19, v26
	v_dot2c_f32_f16_e32 v57, v19, v27
	ds_read_b128 v[16:19], v94 offset:10752
	s_waitcnt lgkmcnt(1)
	v_dot2c_f32_f16_e32 v28, v102, v20
	v_dot2c_f32_f16_e32 v29, v102, v21
	;; [unrolled: 1-line block ×16, first 2 shown]
	ds_read_b128 v[20:23], v95 offset:27136
	v_dot2c_f32_f16_e32 v33, v102, v24
	v_dot2c_f32_f16_e32 v32, v102, v25
	;; [unrolled: 1-line block ×16, first 2 shown]
	ds_read_b128 v[24:27], v95 offset:27392
	ds_read_b128 v[102:105], v94 offset:11008
	s_waitcnt lgkmcnt(2)
	v_dot2c_f32_f16_e32 v93, v16, v20
	v_dot2c_f32_f16_e32 v91, v16, v21
	;; [unrolled: 1-line block ×16, first 2 shown]
	s_waitcnt lgkmcnt(1)
	v_dot2c_f32_f16_e32 v89, v16, v24
	v_dot2c_f32_f16_e32 v87, v16, v25
	;; [unrolled: 1-line block ×16, first 2 shown]
	ds_read_b128 v[16:19], v94 offset:11264
	s_waitcnt lgkmcnt(1)
	v_dot2c_f32_f16_e32 v28, v102, v20
	v_dot2c_f32_f16_e32 v29, v102, v21
	;; [unrolled: 1-line block ×16, first 2 shown]
	ds_read_b128 v[20:23], v95 offset:27648
	v_dot2c_f32_f16_e32 v33, v102, v24
	v_dot2c_f32_f16_e32 v32, v102, v25
	;; [unrolled: 1-line block ×16, first 2 shown]
	ds_read_b128 v[24:27], v95 offset:27904
	ds_read_b128 v[102:105], v94 offset:11520
	s_waitcnt lgkmcnt(2)
	v_dot2c_f32_f16_e32 v93, v16, v20
	v_dot2c_f32_f16_e32 v91, v16, v21
	;; [unrolled: 1-line block ×16, first 2 shown]
	s_waitcnt lgkmcnt(1)
	v_dot2c_f32_f16_e32 v89, v16, v24
	v_dot2c_f32_f16_e32 v87, v16, v25
	;; [unrolled: 1-line block ×16, first 2 shown]
	ds_read_b128 v[16:19], v94 offset:11776
	s_waitcnt lgkmcnt(1)
	v_dot2c_f32_f16_e32 v28, v102, v20
	v_dot2c_f32_f16_e32 v29, v102, v21
	;; [unrolled: 1-line block ×16, first 2 shown]
	ds_read_b128 v[20:23], v95 offset:28160
	v_dot2c_f32_f16_e32 v33, v102, v24
	v_dot2c_f32_f16_e32 v32, v102, v25
	;; [unrolled: 1-line block ×16, first 2 shown]
	ds_read_b128 v[24:27], v95 offset:28416
	ds_read_b128 v[102:105], v94 offset:12032
	s_waitcnt lgkmcnt(2)
	v_dot2c_f32_f16_e32 v93, v16, v20
	v_dot2c_f32_f16_e32 v91, v16, v21
	;; [unrolled: 1-line block ×16, first 2 shown]
	s_waitcnt lgkmcnt(1)
	v_dot2c_f32_f16_e32 v89, v16, v24
	v_dot2c_f32_f16_e32 v87, v16, v25
	;; [unrolled: 1-line block ×16, first 2 shown]
	ds_read_b128 v[16:19], v94 offset:12288
	s_waitcnt lgkmcnt(1)
	v_dot2c_f32_f16_e32 v28, v102, v20
	v_dot2c_f32_f16_e32 v29, v102, v21
	;; [unrolled: 1-line block ×16, first 2 shown]
	ds_read_b128 v[20:23], v95 offset:28672
	v_dot2c_f32_f16_e32 v33, v102, v24
	v_dot2c_f32_f16_e32 v32, v102, v25
	;; [unrolled: 1-line block ×16, first 2 shown]
	ds_read_b128 v[24:27], v95 offset:28928
	ds_read_b128 v[102:105], v94 offset:12544
	s_waitcnt lgkmcnt(2)
	v_dot2c_f32_f16_e32 v93, v16, v20
	v_dot2c_f32_f16_e32 v91, v16, v21
	v_dot2c_f32_f16_e32 v92, v16, v22
	v_dot2c_f32_f16_e32 v90, v16, v23
	v_dot2c_f32_f16_e32 v81, v17, v20
	v_dot2c_f32_f16_e32 v79, v17, v21
	v_dot2c_f32_f16_e32 v80, v17, v22
	v_dot2c_f32_f16_e32 v78, v17, v23
	v_dot2c_f32_f16_e32 v77, v18, v20
	v_dot2c_f32_f16_e32 v75, v18, v21
	v_dot2c_f32_f16_e32 v76, v18, v22
	v_dot2c_f32_f16_e32 v74, v18, v23
	v_dot2c_f32_f16_e32 v53, v19, v20
	v_dot2c_f32_f16_e32 v49, v19, v21
	v_dot2c_f32_f16_e32 v50, v19, v22
	v_dot2c_f32_f16_e32 v48, v19, v23
	s_waitcnt lgkmcnt(1)
	v_dot2c_f32_f16_e32 v89, v16, v24
	v_dot2c_f32_f16_e32 v87, v16, v25
	;; [unrolled: 1-line block ×16, first 2 shown]
	ds_read_b128 v[16:19], v94 offset:12800
	ds_read_b128 v[106:109], v95 offset:29184
	s_waitcnt lgkmcnt(2)
	v_dot2c_f32_f16_e32 v28, v102, v20
	v_dot2c_f32_f16_e32 v29, v102, v21
	;; [unrolled: 1-line block ×32, first 2 shown]
	ds_read_b128 v[20:23], v95 offset:29440
	ds_read_b128 v[102:105], v94 offset:13056
	s_waitcnt lgkmcnt(2)
	v_dot2c_f32_f16_e32 v93, v16, v106
	v_dot2c_f32_f16_e32 v91, v16, v107
	;; [unrolled: 1-line block ×16, first 2 shown]
	s_waitcnt lgkmcnt(1)
	v_dot2c_f32_f16_e32 v89, v16, v20
	v_dot2c_f32_f16_e32 v87, v16, v21
	;; [unrolled: 1-line block ×16, first 2 shown]
	ds_read_b128 v[16:19], v94 offset:13312
	ds_read_b128 v[24:27], v95 offset:29696
	s_waitcnt lgkmcnt(2)
	v_dot2c_f32_f16_e32 v28, v102, v106
	v_dot2c_f32_f16_e32 v29, v102, v107
	;; [unrolled: 1-line block ×32, first 2 shown]
	ds_read_b128 v[20:23], v95 offset:29952
	ds_read_b128 v[102:105], v94 offset:13568
	s_waitcnt lgkmcnt(2)
	v_dot2c_f32_f16_e32 v93, v16, v24
	v_dot2c_f32_f16_e32 v91, v16, v25
	;; [unrolled: 1-line block ×16, first 2 shown]
	s_waitcnt lgkmcnt(1)
	v_dot2c_f32_f16_e32 v89, v16, v20
	v_dot2c_f32_f16_e32 v87, v16, v21
	v_dot2c_f32_f16_e32 v88, v16, v22
	v_dot2c_f32_f16_e32 v86, v16, v23
	v_dot2c_f32_f16_e32 v85, v17, v20
	v_dot2c_f32_f16_e32 v83, v17, v21
	v_dot2c_f32_f16_e32 v84, v17, v22
	v_dot2c_f32_f16_e32 v82, v17, v23
	v_dot2c_f32_f16_e32 v69, v18, v20
	v_dot2c_f32_f16_e32 v67, v18, v21
	v_dot2c_f32_f16_e32 v68, v18, v22
	v_dot2c_f32_f16_e32 v66, v18, v23
	v_dot2c_f32_f16_e32 v61, v19, v20
	v_dot2c_f32_f16_e32 v58, v19, v21
	v_dot2c_f32_f16_e32 v59, v19, v22
	v_dot2c_f32_f16_e32 v57, v19, v23
	ds_read_b128 v[16:19], v94 offset:13824
	s_waitcnt lgkmcnt(1)
	v_dot2c_f32_f16_e32 v28, v102, v24
	v_dot2c_f32_f16_e32 v29, v102, v25
	;; [unrolled: 1-line block ×16, first 2 shown]
	ds_read_b128 v[24:27], v95 offset:30208
	v_dot2c_f32_f16_e32 v33, v102, v20
	v_dot2c_f32_f16_e32 v32, v102, v21
	;; [unrolled: 1-line block ×16, first 2 shown]
	ds_read_b128 v[20:23], v95 offset:30464
	ds_read_b128 v[102:105], v94 offset:14080
	s_waitcnt lgkmcnt(2)
	v_dot2c_f32_f16_e32 v93, v16, v24
	v_dot2c_f32_f16_e32 v91, v16, v25
	;; [unrolled: 1-line block ×16, first 2 shown]
	s_waitcnt lgkmcnt(1)
	v_dot2c_f32_f16_e32 v89, v16, v20
	v_dot2c_f32_f16_e32 v87, v16, v21
	;; [unrolled: 1-line block ×16, first 2 shown]
	ds_read_b128 v[16:19], v94 offset:14336
	s_waitcnt lgkmcnt(1)
	v_dot2c_f32_f16_e32 v28, v102, v24
	v_dot2c_f32_f16_e32 v29, v102, v25
	;; [unrolled: 1-line block ×16, first 2 shown]
	ds_read_b128 v[24:27], v95 offset:30720
	v_dot2c_f32_f16_e32 v33, v102, v20
	v_dot2c_f32_f16_e32 v32, v102, v21
	;; [unrolled: 1-line block ×16, first 2 shown]
	ds_read_b128 v[20:23], v95 offset:30976
	ds_read_b128 v[102:105], v94 offset:14592
	s_waitcnt lgkmcnt(2)
	v_dot2c_f32_f16_e32 v93, v16, v24
	v_dot2c_f32_f16_e32 v91, v16, v25
	;; [unrolled: 1-line block ×16, first 2 shown]
	s_waitcnt lgkmcnt(1)
	v_dot2c_f32_f16_e32 v89, v16, v20
	v_dot2c_f32_f16_e32 v87, v16, v21
	;; [unrolled: 1-line block ×16, first 2 shown]
	ds_read_b128 v[16:19], v94 offset:14848
	s_waitcnt lgkmcnt(1)
	v_dot2c_f32_f16_e32 v28, v102, v24
	v_dot2c_f32_f16_e32 v29, v102, v25
	v_dot2c_f32_f16_e32 v30, v102, v26
	v_dot2c_f32_f16_e32 v31, v102, v27
	v_dot2c_f32_f16_e32 v41, v103, v24
	v_dot2c_f32_f16_e32 v40, v103, v25
	v_dot2c_f32_f16_e32 v42, v103, v26
	v_dot2c_f32_f16_e32 v43, v103, v27
	v_dot2c_f32_f16_e32 v45, v104, v24
	v_dot2c_f32_f16_e32 v44, v104, v25
	v_dot2c_f32_f16_e32 v46, v104, v26
	v_dot2c_f32_f16_e32 v47, v104, v27
	v_dot2c_f32_f16_e32 v71, v105, v24
	v_dot2c_f32_f16_e32 v70, v105, v25
	v_dot2c_f32_f16_e32 v72, v105, v26
	v_dot2c_f32_f16_e32 v73, v105, v27
	ds_read_b128 v[24:27], v95 offset:31232
	v_dot2c_f32_f16_e32 v33, v102, v20
	v_dot2c_f32_f16_e32 v32, v102, v21
	;; [unrolled: 1-line block ×16, first 2 shown]
	ds_read_b128 v[20:23], v95 offset:31488
	ds_read_b128 v[102:105], v94 offset:15104
	s_waitcnt lgkmcnt(2)
	v_dot2c_f32_f16_e32 v93, v16, v24
	v_dot2c_f32_f16_e32 v91, v16, v25
	;; [unrolled: 1-line block ×16, first 2 shown]
	s_waitcnt lgkmcnt(1)
	v_dot2c_f32_f16_e32 v89, v16, v20
	v_dot2c_f32_f16_e32 v87, v16, v21
	;; [unrolled: 1-line block ×16, first 2 shown]
	ds_read_b128 v[16:19], v94 offset:15360
	s_waitcnt lgkmcnt(1)
	v_dot2c_f32_f16_e32 v28, v102, v24
	v_dot2c_f32_f16_e32 v29, v102, v25
	;; [unrolled: 1-line block ×16, first 2 shown]
	ds_read_b128 v[24:27], v95 offset:31744
	v_dot2c_f32_f16_e32 v33, v102, v20
	v_dot2c_f32_f16_e32 v32, v102, v21
	;; [unrolled: 1-line block ×16, first 2 shown]
	ds_read_b128 v[20:23], v95 offset:32000
	ds_read_b128 v[102:105], v94 offset:15616
	s_waitcnt lgkmcnt(2)
	v_dot2c_f32_f16_e32 v93, v16, v24
	v_dot2c_f32_f16_e32 v91, v16, v25
	;; [unrolled: 1-line block ×16, first 2 shown]
	s_waitcnt lgkmcnt(1)
	v_dot2c_f32_f16_e32 v89, v16, v20
	v_dot2c_f32_f16_e32 v87, v16, v21
	;; [unrolled: 1-line block ×16, first 2 shown]
	ds_read_b128 v[16:19], v94 offset:15872
	s_waitcnt lgkmcnt(1)
	v_dot2c_f32_f16_e32 v28, v102, v24
	v_dot2c_f32_f16_e32 v29, v102, v25
	;; [unrolled: 1-line block ×16, first 2 shown]
	ds_read_b128 v[24:27], v95 offset:32256
	v_dot2c_f32_f16_e32 v33, v102, v20
	v_dot2c_f32_f16_e32 v32, v102, v21
	;; [unrolled: 1-line block ×16, first 2 shown]
	ds_read_b128 v[20:23], v95 offset:32512
	ds_read_b128 v[102:105], v94 offset:16128
	s_waitcnt lgkmcnt(2)
	v_dot2c_f32_f16_e32 v93, v16, v24
	v_dot2c_f32_f16_e32 v91, v16, v25
	v_dot2c_f32_f16_e32 v92, v16, v26
	v_dot2c_f32_f16_e32 v90, v16, v27
	v_dot2c_f32_f16_e32 v81, v17, v24
	v_dot2c_f32_f16_e32 v79, v17, v25
	v_dot2c_f32_f16_e32 v80, v17, v26
	v_dot2c_f32_f16_e32 v78, v17, v27
	v_dot2c_f32_f16_e32 v77, v18, v24
	v_dot2c_f32_f16_e32 v75, v18, v25
	v_dot2c_f32_f16_e32 v76, v18, v26
	v_dot2c_f32_f16_e32 v74, v18, v27
	v_dot2c_f32_f16_e32 v53, v19, v24
	v_dot2c_f32_f16_e32 v49, v19, v25
	v_dot2c_f32_f16_e32 v50, v19, v26
	v_dot2c_f32_f16_e32 v48, v19, v27
	s_waitcnt lgkmcnt(1)
	v_dot2c_f32_f16_e32 v89, v16, v20
	v_dot2c_f32_f16_e32 v87, v16, v21
	v_dot2c_f32_f16_e32 v88, v16, v22
	v_dot2c_f32_f16_e32 v86, v16, v23
	v_dot2c_f32_f16_e32 v85, v17, v20
	v_dot2c_f32_f16_e32 v83, v17, v21
	v_dot2c_f32_f16_e32 v84, v17, v22
	v_dot2c_f32_f16_e32 v82, v17, v23
	v_dot2c_f32_f16_e32 v69, v18, v20
	v_dot2c_f32_f16_e32 v67, v18, v21
	v_dot2c_f32_f16_e32 v68, v18, v22
	v_dot2c_f32_f16_e32 v66, v18, v23
	v_dot2c_f32_f16_e32 v61, v19, v20
	v_dot2c_f32_f16_e32 v58, v19, v21
	v_dot2c_f32_f16_e32 v59, v19, v22
	v_dot2c_f32_f16_e32 v57, v19, v23
	;; [unrolled: 17-line block ×3, first 2 shown]
	v_dot2c_f32_f16_e32 v33, v102, v20
	v_dot2c_f32_f16_e32 v32, v102, v21
	;; [unrolled: 1-line block ×16, first 2 shown]
	ds_write_b128 v96, v[0:3]
	ds_write_b128 v96, v[4:7] offset:512
	ds_write_b128 v96, v[8:11] offset:16384
	;; [unrolled: 1-line block ×3, first 2 shown]
	s_cbranch_scc1 .LBB2_1
; %bb.2:
	s_waitcnt lgkmcnt(0)
	s_barrier
	ds_read_b128 v[0:3], v94
	ds_read_b128 v[4:7], v95 offset:16384
	ds_read_b128 v[8:11], v95 offset:16640
	;; [unrolled: 1-line block ×3, first 2 shown]
	s_lshl_b32 s2, s2, 1
	s_waitcnt lgkmcnt(2)
	v_dot2c_f32_f16_e32 v93, v0, v4
	v_dot2c_f32_f16_e32 v91, v0, v5
	;; [unrolled: 1-line block ×16, first 2 shown]
	s_waitcnt lgkmcnt(1)
	v_dot2c_f32_f16_e32 v89, v0, v8
	v_dot2c_f32_f16_e32 v87, v0, v9
	;; [unrolled: 1-line block ×16, first 2 shown]
	ds_read_b128 v[0:3], v94 offset:512
	s_waitcnt lgkmcnt(1)
	v_dot2c_f32_f16_e32 v28, v12, v4
	v_dot2c_f32_f16_e32 v29, v12, v5
	;; [unrolled: 1-line block ×16, first 2 shown]
	ds_read_b128 v[4:7], v95 offset:16896
	v_dot2c_f32_f16_e32 v33, v12, v8
	v_dot2c_f32_f16_e32 v32, v12, v9
	;; [unrolled: 1-line block ×16, first 2 shown]
	ds_read_b128 v[8:11], v95 offset:17152
	ds_read_b128 v[12:15], v94 offset:768
	s_waitcnt lgkmcnt(2)
	v_dot2c_f32_f16_e32 v93, v0, v4
	v_dot2c_f32_f16_e32 v91, v0, v5
	;; [unrolled: 1-line block ×16, first 2 shown]
	s_waitcnt lgkmcnt(1)
	v_dot2c_f32_f16_e32 v89, v0, v8
	v_dot2c_f32_f16_e32 v87, v0, v9
	;; [unrolled: 1-line block ×16, first 2 shown]
	ds_read_b128 v[0:3], v94 offset:1024
	s_waitcnt lgkmcnt(1)
	v_dot2c_f32_f16_e32 v28, v12, v4
	v_dot2c_f32_f16_e32 v29, v12, v5
	;; [unrolled: 1-line block ×16, first 2 shown]
	ds_read_b128 v[4:7], v95 offset:17408
	v_dot2c_f32_f16_e32 v33, v12, v8
	v_dot2c_f32_f16_e32 v32, v12, v9
	v_dot2c_f32_f16_e32 v34, v12, v10
	v_dot2c_f32_f16_e32 v35, v12, v11
	v_dot2c_f32_f16_e32 v37, v13, v8
	v_dot2c_f32_f16_e32 v36, v13, v9
	v_dot2c_f32_f16_e32 v38, v13, v10
	v_dot2c_f32_f16_e32 v39, v13, v11
	v_dot2c_f32_f16_e32 v54, v14, v8
	v_dot2c_f32_f16_e32 v51, v14, v9
	v_dot2c_f32_f16_e32 v55, v14, v10
	v_dot2c_f32_f16_e32 v56, v14, v11
	v_dot2c_f32_f16_e32 v63, v15, v8
	v_dot2c_f32_f16_e32 v62, v15, v9
	v_dot2c_f32_f16_e32 v64, v15, v10
	v_dot2c_f32_f16_e32 v65, v15, v11
	ds_read_b128 v[8:11], v95 offset:17664
	ds_read_b128 v[12:15], v94 offset:1280
	s_waitcnt lgkmcnt(2)
	v_dot2c_f32_f16_e32 v93, v0, v4
	v_dot2c_f32_f16_e32 v91, v0, v5
	v_dot2c_f32_f16_e32 v92, v0, v6
	v_dot2c_f32_f16_e32 v90, v0, v7
	v_dot2c_f32_f16_e32 v81, v1, v4
	v_dot2c_f32_f16_e32 v79, v1, v5
	v_dot2c_f32_f16_e32 v80, v1, v6
	v_dot2c_f32_f16_e32 v78, v1, v7
	v_dot2c_f32_f16_e32 v77, v2, v4
	v_dot2c_f32_f16_e32 v75, v2, v5
	v_dot2c_f32_f16_e32 v76, v2, v6
	v_dot2c_f32_f16_e32 v74, v2, v7
	v_dot2c_f32_f16_e32 v53, v3, v4
	v_dot2c_f32_f16_e32 v49, v3, v5
	v_dot2c_f32_f16_e32 v50, v3, v6
	v_dot2c_f32_f16_e32 v48, v3, v7
	s_waitcnt lgkmcnt(1)
	v_dot2c_f32_f16_e32 v89, v0, v8
	v_dot2c_f32_f16_e32 v87, v0, v9
	;; [unrolled: 1-line block ×16, first 2 shown]
	ds_read_b128 v[0:3], v94 offset:1536
	s_waitcnt lgkmcnt(1)
	v_dot2c_f32_f16_e32 v28, v12, v4
	v_dot2c_f32_f16_e32 v29, v12, v5
	;; [unrolled: 1-line block ×16, first 2 shown]
	ds_read_b128 v[4:7], v95 offset:17920
	v_dot2c_f32_f16_e32 v33, v12, v8
	v_dot2c_f32_f16_e32 v32, v12, v9
	;; [unrolled: 1-line block ×16, first 2 shown]
	ds_read_b128 v[8:11], v95 offset:18176
	ds_read_b128 v[12:15], v94 offset:1792
	s_waitcnt lgkmcnt(2)
	v_dot2c_f32_f16_e32 v93, v0, v4
	v_dot2c_f32_f16_e32 v91, v0, v5
	;; [unrolled: 1-line block ×16, first 2 shown]
	s_waitcnt lgkmcnt(1)
	v_dot2c_f32_f16_e32 v89, v0, v8
	v_dot2c_f32_f16_e32 v87, v0, v9
	;; [unrolled: 1-line block ×16, first 2 shown]
	ds_read_b128 v[0:3], v94 offset:2048
	s_waitcnt lgkmcnt(1)
	v_dot2c_f32_f16_e32 v28, v12, v4
	v_dot2c_f32_f16_e32 v29, v12, v5
	;; [unrolled: 1-line block ×16, first 2 shown]
	ds_read_b128 v[4:7], v95 offset:18432
	v_dot2c_f32_f16_e32 v33, v12, v8
	v_dot2c_f32_f16_e32 v32, v12, v9
	;; [unrolled: 1-line block ×16, first 2 shown]
	ds_read_b128 v[8:11], v95 offset:18688
	ds_read_b128 v[12:15], v94 offset:2304
	s_waitcnt lgkmcnt(2)
	v_dot2c_f32_f16_e32 v93, v0, v4
	v_dot2c_f32_f16_e32 v91, v0, v5
	;; [unrolled: 1-line block ×16, first 2 shown]
	s_waitcnt lgkmcnt(1)
	v_dot2c_f32_f16_e32 v89, v0, v8
	v_dot2c_f32_f16_e32 v87, v0, v9
	;; [unrolled: 1-line block ×16, first 2 shown]
	ds_read_b128 v[0:3], v94 offset:2560
	s_waitcnt lgkmcnt(1)
	v_dot2c_f32_f16_e32 v28, v12, v4
	v_dot2c_f32_f16_e32 v29, v12, v5
	;; [unrolled: 1-line block ×16, first 2 shown]
	ds_read_b128 v[4:7], v95 offset:18944
	v_dot2c_f32_f16_e32 v33, v12, v8
	v_dot2c_f32_f16_e32 v32, v12, v9
	;; [unrolled: 1-line block ×16, first 2 shown]
	ds_read_b128 v[8:11], v95 offset:19200
	ds_read_b128 v[12:15], v94 offset:2816
	s_waitcnt lgkmcnt(2)
	v_dot2c_f32_f16_e32 v93, v0, v4
	v_dot2c_f32_f16_e32 v91, v0, v5
	;; [unrolled: 1-line block ×16, first 2 shown]
	s_waitcnt lgkmcnt(1)
	v_dot2c_f32_f16_e32 v89, v0, v8
	v_dot2c_f32_f16_e32 v87, v0, v9
	;; [unrolled: 1-line block ×16, first 2 shown]
	ds_read_b128 v[0:3], v94 offset:3072
	s_waitcnt lgkmcnt(1)
	v_dot2c_f32_f16_e32 v28, v12, v4
	v_dot2c_f32_f16_e32 v29, v12, v5
	;; [unrolled: 1-line block ×16, first 2 shown]
	ds_read_b128 v[4:7], v95 offset:19456
	v_dot2c_f32_f16_e32 v33, v12, v8
	v_dot2c_f32_f16_e32 v32, v12, v9
	;; [unrolled: 1-line block ×16, first 2 shown]
	ds_read_b128 v[8:11], v95 offset:19712
	ds_read_b128 v[12:15], v94 offset:3328
	s_waitcnt lgkmcnt(2)
	v_dot2c_f32_f16_e32 v93, v0, v4
	v_dot2c_f32_f16_e32 v91, v0, v5
	;; [unrolled: 1-line block ×16, first 2 shown]
	s_waitcnt lgkmcnt(1)
	v_dot2c_f32_f16_e32 v89, v0, v8
	v_dot2c_f32_f16_e32 v87, v0, v9
	;; [unrolled: 1-line block ×16, first 2 shown]
	ds_read_b128 v[0:3], v94 offset:3584
	s_waitcnt lgkmcnt(1)
	v_dot2c_f32_f16_e32 v28, v12, v4
	v_dot2c_f32_f16_e32 v29, v12, v5
	;; [unrolled: 1-line block ×16, first 2 shown]
	ds_read_b128 v[4:7], v95 offset:19968
	v_dot2c_f32_f16_e32 v33, v12, v8
	v_dot2c_f32_f16_e32 v32, v12, v9
	;; [unrolled: 1-line block ×16, first 2 shown]
	ds_read_b128 v[8:11], v95 offset:20224
	ds_read_b128 v[12:15], v94 offset:3840
	s_waitcnt lgkmcnt(2)
	v_dot2c_f32_f16_e32 v93, v0, v4
	v_dot2c_f32_f16_e32 v91, v0, v5
	;; [unrolled: 1-line block ×16, first 2 shown]
	s_waitcnt lgkmcnt(1)
	v_dot2c_f32_f16_e32 v89, v0, v8
	v_dot2c_f32_f16_e32 v87, v0, v9
	v_dot2c_f32_f16_e32 v88, v0, v10
	v_dot2c_f32_f16_e32 v86, v0, v11
	v_dot2c_f32_f16_e32 v85, v1, v8
	v_dot2c_f32_f16_e32 v83, v1, v9
	v_dot2c_f32_f16_e32 v84, v1, v10
	v_dot2c_f32_f16_e32 v82, v1, v11
	v_dot2c_f32_f16_e32 v69, v2, v8
	v_dot2c_f32_f16_e32 v67, v2, v9
	v_dot2c_f32_f16_e32 v68, v2, v10
	v_dot2c_f32_f16_e32 v66, v2, v11
	v_dot2c_f32_f16_e32 v61, v3, v8
	v_dot2c_f32_f16_e32 v58, v3, v9
	v_dot2c_f32_f16_e32 v59, v3, v10
	v_dot2c_f32_f16_e32 v57, v3, v11
	ds_read_b128 v[0:3], v94 offset:4096
	s_waitcnt lgkmcnt(1)
	v_dot2c_f32_f16_e32 v28, v12, v4
	v_dot2c_f32_f16_e32 v29, v12, v5
	;; [unrolled: 1-line block ×16, first 2 shown]
	ds_read_b128 v[4:7], v95 offset:20480
	v_dot2c_f32_f16_e32 v33, v12, v8
	v_dot2c_f32_f16_e32 v32, v12, v9
	;; [unrolled: 1-line block ×16, first 2 shown]
	ds_read_b128 v[8:11], v95 offset:20736
	ds_read_b128 v[12:15], v94 offset:4352
	s_waitcnt lgkmcnt(2)
	v_dot2c_f32_f16_e32 v93, v0, v4
	v_dot2c_f32_f16_e32 v91, v0, v5
	;; [unrolled: 1-line block ×16, first 2 shown]
	s_waitcnt lgkmcnt(1)
	v_dot2c_f32_f16_e32 v89, v0, v8
	v_dot2c_f32_f16_e32 v87, v0, v9
	;; [unrolled: 1-line block ×16, first 2 shown]
	ds_read_b128 v[0:3], v94 offset:4608
	s_waitcnt lgkmcnt(1)
	v_dot2c_f32_f16_e32 v28, v12, v4
	v_dot2c_f32_f16_e32 v29, v12, v5
	;; [unrolled: 1-line block ×16, first 2 shown]
	ds_read_b128 v[4:7], v95 offset:20992
	v_dot2c_f32_f16_e32 v33, v12, v8
	v_dot2c_f32_f16_e32 v32, v12, v9
	;; [unrolled: 1-line block ×16, first 2 shown]
	ds_read_b128 v[8:11], v95 offset:21248
	ds_read_b128 v[12:15], v94 offset:4864
	s_waitcnt lgkmcnt(2)
	v_dot2c_f32_f16_e32 v93, v0, v4
	v_dot2c_f32_f16_e32 v91, v0, v5
	;; [unrolled: 1-line block ×16, first 2 shown]
	s_waitcnt lgkmcnt(1)
	v_dot2c_f32_f16_e32 v89, v0, v8
	v_dot2c_f32_f16_e32 v87, v0, v9
	;; [unrolled: 1-line block ×16, first 2 shown]
	ds_read_b128 v[0:3], v94 offset:5120
	s_waitcnt lgkmcnt(1)
	v_dot2c_f32_f16_e32 v28, v12, v4
	v_dot2c_f32_f16_e32 v29, v12, v5
	;; [unrolled: 1-line block ×16, first 2 shown]
	ds_read_b128 v[4:7], v95 offset:21504
	v_dot2c_f32_f16_e32 v33, v12, v8
	v_dot2c_f32_f16_e32 v32, v12, v9
	;; [unrolled: 1-line block ×16, first 2 shown]
	ds_read_b128 v[8:11], v95 offset:21760
	ds_read_b128 v[12:15], v94 offset:5376
	s_waitcnt lgkmcnt(2)
	v_dot2c_f32_f16_e32 v93, v0, v4
	v_dot2c_f32_f16_e32 v91, v0, v5
	v_dot2c_f32_f16_e32 v92, v0, v6
	v_dot2c_f32_f16_e32 v90, v0, v7
	v_dot2c_f32_f16_e32 v81, v1, v4
	v_dot2c_f32_f16_e32 v79, v1, v5
	v_dot2c_f32_f16_e32 v80, v1, v6
	v_dot2c_f32_f16_e32 v78, v1, v7
	v_dot2c_f32_f16_e32 v77, v2, v4
	v_dot2c_f32_f16_e32 v75, v2, v5
	v_dot2c_f32_f16_e32 v76, v2, v6
	v_dot2c_f32_f16_e32 v74, v2, v7
	v_dot2c_f32_f16_e32 v53, v3, v4
	v_dot2c_f32_f16_e32 v49, v3, v5
	v_dot2c_f32_f16_e32 v50, v3, v6
	v_dot2c_f32_f16_e32 v48, v3, v7
	s_waitcnt lgkmcnt(1)
	v_dot2c_f32_f16_e32 v89, v0, v8
	v_dot2c_f32_f16_e32 v87, v0, v9
	;; [unrolled: 1-line block ×16, first 2 shown]
	ds_read_b128 v[0:3], v94 offset:5632
	s_waitcnt lgkmcnt(1)
	v_dot2c_f32_f16_e32 v28, v12, v4
	v_dot2c_f32_f16_e32 v29, v12, v5
	;; [unrolled: 1-line block ×16, first 2 shown]
	ds_read_b128 v[4:7], v95 offset:22016
	v_dot2c_f32_f16_e32 v33, v12, v8
	v_dot2c_f32_f16_e32 v32, v12, v9
	;; [unrolled: 1-line block ×16, first 2 shown]
	ds_read_b128 v[8:11], v95 offset:22272
	ds_read_b128 v[12:15], v94 offset:5888
	s_waitcnt lgkmcnt(2)
	v_dot2c_f32_f16_e32 v93, v0, v4
	v_dot2c_f32_f16_e32 v91, v0, v5
	v_dot2c_f32_f16_e32 v92, v0, v6
	v_dot2c_f32_f16_e32 v90, v0, v7
	v_dot2c_f32_f16_e32 v81, v1, v4
	v_dot2c_f32_f16_e32 v79, v1, v5
	v_dot2c_f32_f16_e32 v80, v1, v6
	v_dot2c_f32_f16_e32 v78, v1, v7
	v_dot2c_f32_f16_e32 v77, v2, v4
	v_dot2c_f32_f16_e32 v75, v2, v5
	v_dot2c_f32_f16_e32 v76, v2, v6
	v_dot2c_f32_f16_e32 v74, v2, v7
	v_dot2c_f32_f16_e32 v53, v3, v4
	v_dot2c_f32_f16_e32 v49, v3, v5
	v_dot2c_f32_f16_e32 v50, v3, v6
	v_dot2c_f32_f16_e32 v48, v3, v7
	s_waitcnt lgkmcnt(1)
	v_dot2c_f32_f16_e32 v89, v0, v8
	v_dot2c_f32_f16_e32 v87, v0, v9
	;; [unrolled: 1-line block ×16, first 2 shown]
	ds_read_b128 v[0:3], v94 offset:6144
	s_waitcnt lgkmcnt(1)
	v_dot2c_f32_f16_e32 v28, v12, v4
	v_dot2c_f32_f16_e32 v29, v12, v5
	;; [unrolled: 1-line block ×16, first 2 shown]
	ds_read_b128 v[4:7], v95 offset:22528
	v_dot2c_f32_f16_e32 v33, v12, v8
	v_dot2c_f32_f16_e32 v32, v12, v9
	;; [unrolled: 1-line block ×16, first 2 shown]
	ds_read_b128 v[8:11], v95 offset:22784
	ds_read_b128 v[12:15], v94 offset:6400
	s_waitcnt lgkmcnt(2)
	v_dot2c_f32_f16_e32 v93, v0, v4
	v_dot2c_f32_f16_e32 v91, v0, v5
	;; [unrolled: 1-line block ×16, first 2 shown]
	s_waitcnt lgkmcnt(1)
	v_dot2c_f32_f16_e32 v89, v0, v8
	v_dot2c_f32_f16_e32 v87, v0, v9
	;; [unrolled: 1-line block ×16, first 2 shown]
	ds_read_b128 v[0:3], v94 offset:6656
	s_waitcnt lgkmcnt(1)
	v_dot2c_f32_f16_e32 v28, v12, v4
	v_dot2c_f32_f16_e32 v29, v12, v5
	;; [unrolled: 1-line block ×16, first 2 shown]
	ds_read_b128 v[4:7], v95 offset:23040
	v_dot2c_f32_f16_e32 v33, v12, v8
	v_dot2c_f32_f16_e32 v32, v12, v9
	v_dot2c_f32_f16_e32 v34, v12, v10
	v_dot2c_f32_f16_e32 v35, v12, v11
	v_dot2c_f32_f16_e32 v37, v13, v8
	v_dot2c_f32_f16_e32 v36, v13, v9
	v_dot2c_f32_f16_e32 v38, v13, v10
	v_dot2c_f32_f16_e32 v39, v13, v11
	v_dot2c_f32_f16_e32 v54, v14, v8
	v_dot2c_f32_f16_e32 v51, v14, v9
	v_dot2c_f32_f16_e32 v55, v14, v10
	v_dot2c_f32_f16_e32 v56, v14, v11
	v_dot2c_f32_f16_e32 v63, v15, v8
	v_dot2c_f32_f16_e32 v62, v15, v9
	v_dot2c_f32_f16_e32 v64, v15, v10
	v_dot2c_f32_f16_e32 v65, v15, v11
	ds_read_b128 v[8:11], v95 offset:23296
	ds_read_b128 v[12:15], v94 offset:6912
	s_waitcnt lgkmcnt(2)
	v_dot2c_f32_f16_e32 v93, v0, v4
	v_dot2c_f32_f16_e32 v91, v0, v5
	;; [unrolled: 1-line block ×16, first 2 shown]
	s_waitcnt lgkmcnt(1)
	v_dot2c_f32_f16_e32 v89, v0, v8
	v_dot2c_f32_f16_e32 v87, v0, v9
	;; [unrolled: 1-line block ×16, first 2 shown]
	ds_read_b128 v[0:3], v94 offset:7168
	s_waitcnt lgkmcnt(1)
	v_dot2c_f32_f16_e32 v28, v12, v4
	v_dot2c_f32_f16_e32 v29, v12, v5
	;; [unrolled: 1-line block ×16, first 2 shown]
	ds_read_b128 v[4:7], v95 offset:23552
	v_dot2c_f32_f16_e32 v33, v12, v8
	v_dot2c_f32_f16_e32 v32, v12, v9
	;; [unrolled: 1-line block ×16, first 2 shown]
	ds_read_b128 v[8:11], v95 offset:23808
	ds_read_b128 v[12:15], v94 offset:7424
	s_waitcnt lgkmcnt(2)
	v_dot2c_f32_f16_e32 v93, v0, v4
	v_dot2c_f32_f16_e32 v91, v0, v5
	;; [unrolled: 1-line block ×16, first 2 shown]
	s_waitcnt lgkmcnt(1)
	v_dot2c_f32_f16_e32 v89, v0, v8
	v_dot2c_f32_f16_e32 v87, v0, v9
	;; [unrolled: 1-line block ×16, first 2 shown]
	ds_read_b128 v[0:3], v94 offset:7680
	s_waitcnt lgkmcnt(1)
	v_dot2c_f32_f16_e32 v28, v12, v4
	v_dot2c_f32_f16_e32 v29, v12, v5
	;; [unrolled: 1-line block ×16, first 2 shown]
	ds_read_b128 v[4:7], v95 offset:24064
	v_dot2c_f32_f16_e32 v33, v12, v8
	v_dot2c_f32_f16_e32 v32, v12, v9
	;; [unrolled: 1-line block ×16, first 2 shown]
	ds_read_b128 v[8:11], v95 offset:24320
	ds_read_b128 v[12:15], v94 offset:7936
	s_waitcnt lgkmcnt(2)
	v_dot2c_f32_f16_e32 v93, v0, v4
	v_dot2c_f32_f16_e32 v91, v0, v5
	;; [unrolled: 1-line block ×16, first 2 shown]
	s_waitcnt lgkmcnt(1)
	v_dot2c_f32_f16_e32 v85, v1, v8
	v_dot2c_f32_f16_e32 v83, v1, v9
	;; [unrolled: 1-line block ×12, first 2 shown]
	s_waitcnt lgkmcnt(0)
	v_dot2c_f32_f16_e32 v28, v12, v4
	v_dot2c_f32_f16_e32 v41, v13, v4
	;; [unrolled: 1-line block ×4, first 2 shown]
	v_cvt_f16_f32_e32 v2, v93
	v_cvt_f16_f32_e32 v1, v92
	;; [unrolled: 1-line block ×4, first 2 shown]
	v_dot2c_f32_f16_e32 v89, v0, v8
	v_dot2c_f32_f16_e32 v87, v0, v9
	;; [unrolled: 1-line block ×4, first 2 shown]
	v_add_u32_e32 v0, s17, v60
	v_mul_lo_u32 v0, v0, s16
	v_dot2c_f32_f16_e32 v29, v12, v5
	v_dot2c_f32_f16_e32 v30, v12, v6
	;; [unrolled: 1-line block ×12, first 2 shown]
	v_add3_u32 v5, s3, v52, v0
	v_pack_b32_f16 v1, v1, v3
	v_pack_b32_f16 v0, v2, v4
	v_cvt_f16_f32_e32 v3, v89
	v_cvt_f16_f32_e32 v4, v88
	;; [unrolled: 1-line block ×4, first 2 shown]
	s_mov_b32 s3, 0x20000
	v_lshlrev_b32_e32 v2, 1, v5
	buffer_store_dwordx2 v[0:1], v2, s[0:3], 0 offen
	v_pack_b32_f16 v1, v4, v6
	v_pack_b32_f16 v0, v3, v7
	v_cvt_f16_f32_e32 v3, v85
	v_cvt_f16_f32_e32 v4, v84
	;; [unrolled: 1-line block ×4, first 2 shown]
	v_add_u32_e32 v2, 64, v5
	v_dot2c_f32_f16_e32 v33, v12, v8
	v_dot2c_f32_f16_e32 v37, v13, v8
	v_dot2c_f32_f16_e32 v54, v14, v8
	v_dot2c_f32_f16_e32 v63, v15, v8
	v_lshlrev_b32_e32 v8, 1, v2
	buffer_store_dwordx2 v[0:1], v8, s[0:3], 0 offen
	v_pack_b32_f16 v1, v4, v6
	v_pack_b32_f16 v0, v3, v7
	v_cvt_f16_f32_e32 v3, v81
	v_cvt_f16_f32_e32 v4, v80
	;; [unrolled: 1-line block ×4, first 2 shown]
	v_add_lshl_u32 v2, v2, s16, 1
	buffer_store_dwordx2 v[0:1], v2, s[0:3], 0 offen
	v_add_u32_e32 v2, s16, v5
	v_pack_b32_f16 v1, v4, v6
	v_pack_b32_f16 v0, v3, v7
	v_cvt_f16_f32_e32 v4, v77
	v_cvt_f16_f32_e32 v5, v76
	;; [unrolled: 1-line block ×4, first 2 shown]
	v_lshlrev_b32_e32 v3, 1, v2
	buffer_store_dwordx2 v[0:1], v3, s[0:3], 0 offen
	v_pack_b32_f16 v1, v5, v6
	v_pack_b32_f16 v0, v4, v7
	v_cvt_f16_f32_e32 v4, v69
	v_cvt_f16_f32_e32 v5, v68
	;; [unrolled: 1-line block ×4, first 2 shown]
	v_add_u32_e32 v2, s16, v2
	v_lshlrev_b32_e32 v3, 1, v2
	buffer_store_dwordx2 v[0:1], v3, s[0:3], 0 offen
	v_pack_b32_f16 v1, v5, v6
	v_pack_b32_f16 v0, v4, v7
	v_cvt_f16_f32_e32 v4, v61
	v_cvt_f16_f32_e32 v5, v59
	;; [unrolled: 1-line block ×4, first 2 shown]
	v_add_u32_e32 v3, 64, v2
	v_lshlrev_b32_e32 v8, 1, v3
	buffer_store_dwordx2 v[0:1], v8, s[0:3], 0 offen
	v_pack_b32_f16 v1, v5, v6
	v_pack_b32_f16 v0, v4, v7
	v_cvt_f16_f32_e32 v4, v53
	v_cvt_f16_f32_e32 v5, v50
	;; [unrolled: 1-line block ×4, first 2 shown]
	v_add_lshl_u32 v3, v3, s16, 1
	buffer_store_dwordx2 v[0:1], v3, s[0:3], 0 offen
	v_pack_b32_f16 v1, v5, v6
	v_pack_b32_f16 v0, v4, v7
	v_cvt_f16_f32_e32 v4, v71
	v_cvt_f16_f32_e32 v5, v72
	;; [unrolled: 1-line block ×4, first 2 shown]
	v_add_u32_e32 v2, s16, v2
	v_dot2c_f32_f16_e32 v62, v15, v9
	v_dot2c_f32_f16_e32 v64, v15, v10
	;; [unrolled: 1-line block ×3, first 2 shown]
	v_lshlrev_b32_e32 v3, 1, v2
	buffer_store_dwordx2 v[0:1], v3, s[0:3], 0 offen
	v_pack_b32_f16 v1, v5, v6
	v_pack_b32_f16 v0, v4, v7
	v_cvt_f16_f32_e32 v4, v63
	v_cvt_f16_f32_e32 v5, v64
	;; [unrolled: 1-line block ×4, first 2 shown]
	v_lshl_add_u32 v2, s16, 6, v2
	v_dot2c_f32_f16_e32 v51, v14, v9
	v_dot2c_f32_f16_e32 v55, v14, v10
	;; [unrolled: 1-line block ×3, first 2 shown]
	v_lshlrev_b32_e32 v3, 1, v2
	buffer_store_dwordx2 v[0:1], v3, s[0:3], 0 offen
	v_pack_b32_f16 v1, v5, v6
	v_pack_b32_f16 v0, v4, v7
	v_cvt_f16_f32_e32 v4, v54
	v_cvt_f16_f32_e32 v5, v55
	;; [unrolled: 1-line block ×4, first 2 shown]
	v_add_u32_e32 v2, 64, v2
	v_lshlrev_b32_e32 v3, 1, v2
	buffer_store_dwordx2 v[0:1], v3, s[0:3], 0 offen
	v_pack_b32_f16 v1, v5, v6
	v_pack_b32_f16 v0, v4, v7
	v_cvt_f16_f32_e32 v4, v45
	v_cvt_f16_f32_e32 v5, v46
	;; [unrolled: 1-line block ×4, first 2 shown]
	v_subrev_u32_e32 v2, s16, v2
	v_lshlrev_b32_e32 v3, 1, v2
	buffer_store_dwordx2 v[0:1], v3, s[0:3], 0 offen
	v_pack_b32_f16 v1, v5, v6
	v_pack_b32_f16 v0, v4, v7
	v_cvt_f16_f32_e32 v4, v41
	v_cvt_f16_f32_e32 v5, v42
	;; [unrolled: 1-line block ×4, first 2 shown]
	v_subrev_u32_e32 v2, 64, v2
	v_dot2c_f32_f16_e32 v36, v13, v9
	v_dot2c_f32_f16_e32 v38, v13, v10
	;; [unrolled: 1-line block ×3, first 2 shown]
	v_lshlrev_b32_e32 v3, 1, v2
	buffer_store_dwordx2 v[0:1], v3, s[0:3], 0 offen
	v_pack_b32_f16 v1, v5, v6
	v_pack_b32_f16 v0, v4, v7
	v_cvt_f16_f32_e32 v4, v37
	v_cvt_f16_f32_e32 v5, v38
	;; [unrolled: 1-line block ×4, first 2 shown]
	v_subrev_u32_e32 v2, s16, v2
	v_dot2c_f32_f16_e32 v32, v12, v9
	v_dot2c_f32_f16_e32 v34, v12, v10
	;; [unrolled: 1-line block ×3, first 2 shown]
	v_lshlrev_b32_e32 v3, 1, v2
	buffer_store_dwordx2 v[0:1], v3, s[0:3], 0 offen
	v_pack_b32_f16 v1, v5, v6
	v_pack_b32_f16 v0, v4, v7
	v_cvt_f16_f32_e32 v4, v33
	v_cvt_f16_f32_e32 v5, v34
	;; [unrolled: 1-line block ×4, first 2 shown]
	v_add_u32_e32 v2, 64, v2
	v_lshlrev_b32_e32 v3, 1, v2
	buffer_store_dwordx2 v[0:1], v3, s[0:3], 0 offen
	v_pack_b32_f16 v1, v5, v6
	v_pack_b32_f16 v0, v4, v7
	v_cvt_f16_f32_e32 v3, v28
	v_cvt_f16_f32_e32 v4, v30
	;; [unrolled: 1-line block ×4, first 2 shown]
	v_subrev_u32_e32 v2, s16, v2
	v_lshlrev_b32_e32 v2, 1, v2
	buffer_store_dwordx2 v[0:1], v2, s[0:3], 0 offen
	v_pack_b32_f16 v1, v4, v5
	v_pack_b32_f16 v0, v3, v6
	v_add_u32_e32 v2, 0xffffff80, v2
	buffer_store_dwordx2 v[0:1], v2, s[0:3], 0 offen
	s_endpgm
	.section	.rodata,"a",@progbits
	.p2align	6, 0x0
	.amdhsa_kernel _ZN2ck19kernel_gemm_dl_v1r3INS_28GridwiseGemmDl_km_kn_mn_v1r3ILi256EDF16_fDF16_LNS_25InMemoryDataOperationEnumE0ENS_16TensorDescriptorINS_5TupleIJNS_5EmbedINS4_IJiiEEENS4_IJNS_17integral_constantIiLi1EEEiEEELb0EEENS_7UnMergeINS4_IJiNS7_IiLi2EEEEEELb0EEENS_11PassThroughIiEEEEENS4_IJNS_8SequenceIJLi0EEEENSI_IJLi2EEEENSI_IJLi1EEEEEEENS4_IJNSI_IJLi1ELi2EEEENSI_IJLi3ELi4EEEENSI_IJLi5EEEEEEENSI_IJLi3ELi5ELi4EEEElEENS3_INS4_IJNS5_IS6_NS4_IJiS8_EEELb0EEESE_SG_EEENS4_IJSJ_SL_SK_EEESQ_SR_lEENS3_INS4_IJSU_SG_SG_EEESW_NS4_IJSN_NSI_IJLi3EEEENSI_IJLi4EEEEEEESO_lEELi128ELi128ELi16ELi2ELi4ELi4ELi1ENSI_IJLi8ELi2EEEES13_NSI_IJLi2ELi1ELi4ELi2EEEENSI_IJLi8ELi1ELi32ELi1EEEENSI_IJLi0ELi3ELi1ELi2EEEES16_NSI_IJLi1ELi1ELi4ELi1EEEES16_NSI_IJLi1ELi1ELi4ELi2EEEES14_S15_S16_S16_S17_S16_S18_NSI_IJLi0ELi1ELi2ELi3ELi4ELi5EEEELi5ELi4EEEDF16_DF16_NS3_INS4_IJSA_SE_SG_SG_NSB_INS4_IJiNS7_IiLi128EEEEEELb0EEENSF_ISC_EEEEENS4_IJSJ_SK_SL_SZ_SP_S10_EEENS4_IJSN_SO_SP_NSI_IJLi6EEEENSI_IJLi7ELi8EEEENSI_IJLi9EEEEEEENSI_IJLi6ELi7ELi8ELi9EEEElEENS3_INS4_IJSU_SE_SG_SG_S1D_S1E_EEENS4_IJSJ_SL_SK_SZ_SP_S10_EEES1K_S1L_lEENS3_INS4_IJSU_SG_SG_NSB_INS4_IJiSC_NS7_IiLi64EEEEEELb0EEES1S_EEENS4_IJSJ_SL_SK_SZ_S10_EEENS4_IJSN_SZ_S10_NSI_IJLi5ELi6ELi7EEEENSI_IJLi8ELi9ELi10EEEEEEENSI_IJLi5ELi6ELi7ELi8ELi9ELi10EEEElEENS_31BlockToCTileMap_M00_N00_M01_N01ILi128ELi128ES12_Lb0EEELb1ELb0EEEvPKT0_S24_PT1_T2_T3_T4_T5_
		.amdhsa_group_segment_fixed_size 32768
		.amdhsa_private_segment_fixed_size 0
		.amdhsa_kernarg_size 328
		.amdhsa_user_sgpr_count 6
		.amdhsa_user_sgpr_private_segment_buffer 1
		.amdhsa_user_sgpr_dispatch_ptr 0
		.amdhsa_user_sgpr_queue_ptr 0
		.amdhsa_user_sgpr_kernarg_segment_ptr 1
		.amdhsa_user_sgpr_dispatch_id 0
		.amdhsa_user_sgpr_flat_scratch_init 0
		.amdhsa_user_sgpr_kernarg_preload_length 0
		.amdhsa_user_sgpr_kernarg_preload_offset 0
		.amdhsa_user_sgpr_private_segment_size 0
		.amdhsa_uses_dynamic_stack 0
		.amdhsa_system_sgpr_private_segment_wavefront_offset 0
		.amdhsa_system_sgpr_workgroup_id_x 1
		.amdhsa_system_sgpr_workgroup_id_y 0
		.amdhsa_system_sgpr_workgroup_id_z 0
		.amdhsa_system_sgpr_workgroup_info 0
		.amdhsa_system_vgpr_workitem_id 0
		.amdhsa_next_free_vgpr 110
		.amdhsa_next_free_sgpr 38
		.amdhsa_accum_offset 112
		.amdhsa_reserve_vcc 0
		.amdhsa_reserve_flat_scratch 0
		.amdhsa_float_round_mode_32 0
		.amdhsa_float_round_mode_16_64 0
		.amdhsa_float_denorm_mode_32 3
		.amdhsa_float_denorm_mode_16_64 3
		.amdhsa_dx10_clamp 1
		.amdhsa_ieee_mode 1
		.amdhsa_fp16_overflow 0
		.amdhsa_tg_split 0
		.amdhsa_exception_fp_ieee_invalid_op 0
		.amdhsa_exception_fp_denorm_src 0
		.amdhsa_exception_fp_ieee_div_zero 0
		.amdhsa_exception_fp_ieee_overflow 0
		.amdhsa_exception_fp_ieee_underflow 0
		.amdhsa_exception_fp_ieee_inexact 0
		.amdhsa_exception_int_div_zero 0
	.end_amdhsa_kernel
	.section	.text._ZN2ck19kernel_gemm_dl_v1r3INS_28GridwiseGemmDl_km_kn_mn_v1r3ILi256EDF16_fDF16_LNS_25InMemoryDataOperationEnumE0ENS_16TensorDescriptorINS_5TupleIJNS_5EmbedINS4_IJiiEEENS4_IJNS_17integral_constantIiLi1EEEiEEELb0EEENS_7UnMergeINS4_IJiNS7_IiLi2EEEEEELb0EEENS_11PassThroughIiEEEEENS4_IJNS_8SequenceIJLi0EEEENSI_IJLi2EEEENSI_IJLi1EEEEEEENS4_IJNSI_IJLi1ELi2EEEENSI_IJLi3ELi4EEEENSI_IJLi5EEEEEEENSI_IJLi3ELi5ELi4EEEElEENS3_INS4_IJNS5_IS6_NS4_IJiS8_EEELb0EEESE_SG_EEENS4_IJSJ_SL_SK_EEESQ_SR_lEENS3_INS4_IJSU_SG_SG_EEESW_NS4_IJSN_NSI_IJLi3EEEENSI_IJLi4EEEEEEESO_lEELi128ELi128ELi16ELi2ELi4ELi4ELi1ENSI_IJLi8ELi2EEEES13_NSI_IJLi2ELi1ELi4ELi2EEEENSI_IJLi8ELi1ELi32ELi1EEEENSI_IJLi0ELi3ELi1ELi2EEEES16_NSI_IJLi1ELi1ELi4ELi1EEEES16_NSI_IJLi1ELi1ELi4ELi2EEEES14_S15_S16_S16_S17_S16_S18_NSI_IJLi0ELi1ELi2ELi3ELi4ELi5EEEELi5ELi4EEEDF16_DF16_NS3_INS4_IJSA_SE_SG_SG_NSB_INS4_IJiNS7_IiLi128EEEEEELb0EEENSF_ISC_EEEEENS4_IJSJ_SK_SL_SZ_SP_S10_EEENS4_IJSN_SO_SP_NSI_IJLi6EEEENSI_IJLi7ELi8EEEENSI_IJLi9EEEEEEENSI_IJLi6ELi7ELi8ELi9EEEElEENS3_INS4_IJSU_SE_SG_SG_S1D_S1E_EEENS4_IJSJ_SL_SK_SZ_SP_S10_EEES1K_S1L_lEENS3_INS4_IJSU_SG_SG_NSB_INS4_IJiSC_NS7_IiLi64EEEEEELb0EEES1S_EEENS4_IJSJ_SL_SK_SZ_S10_EEENS4_IJSN_SZ_S10_NSI_IJLi5ELi6ELi7EEEENSI_IJLi8ELi9ELi10EEEEEEENSI_IJLi5ELi6ELi7ELi8ELi9ELi10EEEElEENS_31BlockToCTileMap_M00_N00_M01_N01ILi128ELi128ES12_Lb0EEELb1ELb0EEEvPKT0_S24_PT1_T2_T3_T4_T5_,"axG",@progbits,_ZN2ck19kernel_gemm_dl_v1r3INS_28GridwiseGemmDl_km_kn_mn_v1r3ILi256EDF16_fDF16_LNS_25InMemoryDataOperationEnumE0ENS_16TensorDescriptorINS_5TupleIJNS_5EmbedINS4_IJiiEEENS4_IJNS_17integral_constantIiLi1EEEiEEELb0EEENS_7UnMergeINS4_IJiNS7_IiLi2EEEEEELb0EEENS_11PassThroughIiEEEEENS4_IJNS_8SequenceIJLi0EEEENSI_IJLi2EEEENSI_IJLi1EEEEEEENS4_IJNSI_IJLi1ELi2EEEENSI_IJLi3ELi4EEEENSI_IJLi5EEEEEEENSI_IJLi3ELi5ELi4EEEElEENS3_INS4_IJNS5_IS6_NS4_IJiS8_EEELb0EEESE_SG_EEENS4_IJSJ_SL_SK_EEESQ_SR_lEENS3_INS4_IJSU_SG_SG_EEESW_NS4_IJSN_NSI_IJLi3EEEENSI_IJLi4EEEEEEESO_lEELi128ELi128ELi16ELi2ELi4ELi4ELi1ENSI_IJLi8ELi2EEEES13_NSI_IJLi2ELi1ELi4ELi2EEEENSI_IJLi8ELi1ELi32ELi1EEEENSI_IJLi0ELi3ELi1ELi2EEEES16_NSI_IJLi1ELi1ELi4ELi1EEEES16_NSI_IJLi1ELi1ELi4ELi2EEEES14_S15_S16_S16_S17_S16_S18_NSI_IJLi0ELi1ELi2ELi3ELi4ELi5EEEELi5ELi4EEEDF16_DF16_NS3_INS4_IJSA_SE_SG_SG_NSB_INS4_IJiNS7_IiLi128EEEEEELb0EEENSF_ISC_EEEEENS4_IJSJ_SK_SL_SZ_SP_S10_EEENS4_IJSN_SO_SP_NSI_IJLi6EEEENSI_IJLi7ELi8EEEENSI_IJLi9EEEEEEENSI_IJLi6ELi7ELi8ELi9EEEElEENS3_INS4_IJSU_SE_SG_SG_S1D_S1E_EEENS4_IJSJ_SL_SK_SZ_SP_S10_EEES1K_S1L_lEENS3_INS4_IJSU_SG_SG_NSB_INS4_IJiSC_NS7_IiLi64EEEEEELb0EEES1S_EEENS4_IJSJ_SL_SK_SZ_S10_EEENS4_IJSN_SZ_S10_NSI_IJLi5ELi6ELi7EEEENSI_IJLi8ELi9ELi10EEEEEEENSI_IJLi5ELi6ELi7ELi8ELi9ELi10EEEElEENS_31BlockToCTileMap_M00_N00_M01_N01ILi128ELi128ES12_Lb0EEELb1ELb0EEEvPKT0_S24_PT1_T2_T3_T4_T5_,comdat
.Lfunc_end2:
	.size	_ZN2ck19kernel_gemm_dl_v1r3INS_28GridwiseGemmDl_km_kn_mn_v1r3ILi256EDF16_fDF16_LNS_25InMemoryDataOperationEnumE0ENS_16TensorDescriptorINS_5TupleIJNS_5EmbedINS4_IJiiEEENS4_IJNS_17integral_constantIiLi1EEEiEEELb0EEENS_7UnMergeINS4_IJiNS7_IiLi2EEEEEELb0EEENS_11PassThroughIiEEEEENS4_IJNS_8SequenceIJLi0EEEENSI_IJLi2EEEENSI_IJLi1EEEEEEENS4_IJNSI_IJLi1ELi2EEEENSI_IJLi3ELi4EEEENSI_IJLi5EEEEEEENSI_IJLi3ELi5ELi4EEEElEENS3_INS4_IJNS5_IS6_NS4_IJiS8_EEELb0EEESE_SG_EEENS4_IJSJ_SL_SK_EEESQ_SR_lEENS3_INS4_IJSU_SG_SG_EEESW_NS4_IJSN_NSI_IJLi3EEEENSI_IJLi4EEEEEEESO_lEELi128ELi128ELi16ELi2ELi4ELi4ELi1ENSI_IJLi8ELi2EEEES13_NSI_IJLi2ELi1ELi4ELi2EEEENSI_IJLi8ELi1ELi32ELi1EEEENSI_IJLi0ELi3ELi1ELi2EEEES16_NSI_IJLi1ELi1ELi4ELi1EEEES16_NSI_IJLi1ELi1ELi4ELi2EEEES14_S15_S16_S16_S17_S16_S18_NSI_IJLi0ELi1ELi2ELi3ELi4ELi5EEEELi5ELi4EEEDF16_DF16_NS3_INS4_IJSA_SE_SG_SG_NSB_INS4_IJiNS7_IiLi128EEEEEELb0EEENSF_ISC_EEEEENS4_IJSJ_SK_SL_SZ_SP_S10_EEENS4_IJSN_SO_SP_NSI_IJLi6EEEENSI_IJLi7ELi8EEEENSI_IJLi9EEEEEEENSI_IJLi6ELi7ELi8ELi9EEEElEENS3_INS4_IJSU_SE_SG_SG_S1D_S1E_EEENS4_IJSJ_SL_SK_SZ_SP_S10_EEES1K_S1L_lEENS3_INS4_IJSU_SG_SG_NSB_INS4_IJiSC_NS7_IiLi64EEEEEELb0EEES1S_EEENS4_IJSJ_SL_SK_SZ_S10_EEENS4_IJSN_SZ_S10_NSI_IJLi5ELi6ELi7EEEENSI_IJLi8ELi9ELi10EEEEEEENSI_IJLi5ELi6ELi7ELi8ELi9ELi10EEEElEENS_31BlockToCTileMap_M00_N00_M01_N01ILi128ELi128ES12_Lb0EEELb1ELb0EEEvPKT0_S24_PT1_T2_T3_T4_T5_, .Lfunc_end2-_ZN2ck19kernel_gemm_dl_v1r3INS_28GridwiseGemmDl_km_kn_mn_v1r3ILi256EDF16_fDF16_LNS_25InMemoryDataOperationEnumE0ENS_16TensorDescriptorINS_5TupleIJNS_5EmbedINS4_IJiiEEENS4_IJNS_17integral_constantIiLi1EEEiEEELb0EEENS_7UnMergeINS4_IJiNS7_IiLi2EEEEEELb0EEENS_11PassThroughIiEEEEENS4_IJNS_8SequenceIJLi0EEEENSI_IJLi2EEEENSI_IJLi1EEEEEEENS4_IJNSI_IJLi1ELi2EEEENSI_IJLi3ELi4EEEENSI_IJLi5EEEEEEENSI_IJLi3ELi5ELi4EEEElEENS3_INS4_IJNS5_IS6_NS4_IJiS8_EEELb0EEESE_SG_EEENS4_IJSJ_SL_SK_EEESQ_SR_lEENS3_INS4_IJSU_SG_SG_EEESW_NS4_IJSN_NSI_IJLi3EEEENSI_IJLi4EEEEEEESO_lEELi128ELi128ELi16ELi2ELi4ELi4ELi1ENSI_IJLi8ELi2EEEES13_NSI_IJLi2ELi1ELi4ELi2EEEENSI_IJLi8ELi1ELi32ELi1EEEENSI_IJLi0ELi3ELi1ELi2EEEES16_NSI_IJLi1ELi1ELi4ELi1EEEES16_NSI_IJLi1ELi1ELi4ELi2EEEES14_S15_S16_S16_S17_S16_S18_NSI_IJLi0ELi1ELi2ELi3ELi4ELi5EEEELi5ELi4EEEDF16_DF16_NS3_INS4_IJSA_SE_SG_SG_NSB_INS4_IJiNS7_IiLi128EEEEEELb0EEENSF_ISC_EEEEENS4_IJSJ_SK_SL_SZ_SP_S10_EEENS4_IJSN_SO_SP_NSI_IJLi6EEEENSI_IJLi7ELi8EEEENSI_IJLi9EEEEEEENSI_IJLi6ELi7ELi8ELi9EEEElEENS3_INS4_IJSU_SE_SG_SG_S1D_S1E_EEENS4_IJSJ_SL_SK_SZ_SP_S10_EEES1K_S1L_lEENS3_INS4_IJSU_SG_SG_NSB_INS4_IJiSC_NS7_IiLi64EEEEEELb0EEES1S_EEENS4_IJSJ_SL_SK_SZ_S10_EEENS4_IJSN_SZ_S10_NSI_IJLi5ELi6ELi7EEEENSI_IJLi8ELi9ELi10EEEEEEENSI_IJLi5ELi6ELi7ELi8ELi9ELi10EEEElEENS_31BlockToCTileMap_M00_N00_M01_N01ILi128ELi128ES12_Lb0EEELb1ELb0EEEvPKT0_S24_PT1_T2_T3_T4_T5_
                                        ; -- End function
	.section	.AMDGPU.csdata,"",@progbits
; Kernel info:
; codeLenInByte = 17056
; NumSgprs: 42
; NumVgprs: 110
; NumAgprs: 0
; TotalNumVgprs: 110
; ScratchSize: 0
; MemoryBound: 0
; FloatMode: 240
; IeeeMode: 1
; LDSByteSize: 32768 bytes/workgroup (compile time only)
; SGPRBlocks: 5
; VGPRBlocks: 13
; NumSGPRsForWavesPerEU: 42
; NumVGPRsForWavesPerEU: 110
; AccumOffset: 112
; Occupancy: 2
; WaveLimiterHint : 0
; COMPUTE_PGM_RSRC2:SCRATCH_EN: 0
; COMPUTE_PGM_RSRC2:USER_SGPR: 6
; COMPUTE_PGM_RSRC2:TRAP_HANDLER: 0
; COMPUTE_PGM_RSRC2:TGID_X_EN: 1
; COMPUTE_PGM_RSRC2:TGID_Y_EN: 0
; COMPUTE_PGM_RSRC2:TGID_Z_EN: 0
; COMPUTE_PGM_RSRC2:TIDIG_COMP_CNT: 0
; COMPUTE_PGM_RSRC3_GFX90A:ACCUM_OFFSET: 27
; COMPUTE_PGM_RSRC3_GFX90A:TG_SPLIT: 0
	.section	.text._ZN2ck19kernel_gemm_dl_v1r3INS_28GridwiseGemmDl_km_kn_mn_v1r3ILi256EDF16_fDF16_LNS_25InMemoryDataOperationEnumE0ENS_16TensorDescriptorINS_5TupleIJNS_5EmbedINS4_IJiiEEENS4_IJNS_17integral_constantIiLi1EEEiEEELb0EEENS_7UnMergeINS4_IJiNS7_IiLi2EEEEEELb0EEENS_11PassThroughIiEEEEENS4_IJNS_8SequenceIJLi0EEEENSI_IJLi2EEEENSI_IJLi1EEEEEEENS4_IJNSI_IJLi1ELi2EEEENSI_IJLi3ELi4EEEENSI_IJLi5EEEEEEENSI_IJLi3ELi5ELi4EEEElEENS3_INS4_IJNS5_IS6_NS4_IJiS8_EEELb0EEESE_SG_EEENS4_IJSJ_SL_SK_EEESQ_SR_lEENS3_INS4_IJSU_SG_SG_EEESW_NS4_IJSN_NSI_IJLi3EEEENSI_IJLi4EEEEEEESO_lEELi128ELi128ELi16ELi2ELi4ELi4ELi1ENSI_IJLi8ELi2EEEES13_NSI_IJLi2ELi1ELi4ELi2EEEENSI_IJLi8ELi1ELi32ELi1EEEENSI_IJLi0ELi3ELi1ELi2EEEES16_NSI_IJLi1ELi1ELi4ELi1EEEES16_NSI_IJLi1ELi1ELi4ELi2EEEES14_S15_S16_S16_S17_S16_S18_NSI_IJLi0ELi1ELi2ELi3ELi4ELi5EEEELi5ELi4EEEDF16_DF16_NS3_INS4_IJSA_SE_SG_SG_NSB_INS4_IJiNS7_IiLi128EEEEEELb0EEENSF_ISC_EEEEENS4_IJSJ_SK_SL_SZ_SP_S10_EEENS4_IJSN_SO_SP_NSI_IJLi6EEEENSI_IJLi7ELi8EEEENSI_IJLi9EEEEEEENSI_IJLi6ELi7ELi8ELi9EEEElEENS3_INS4_IJSU_SE_SG_SG_S1D_S1E_EEENS4_IJSJ_SL_SK_SZ_SP_S10_EEES1K_S1L_lEENS3_INS4_IJSU_SG_SG_NSB_INS4_IJiSC_NS7_IiLi64EEEEEELb0EEES1S_EEENS4_IJSJ_SL_SK_SZ_S10_EEENS4_IJSN_SZ_S10_NSI_IJLi5ELi6ELi7EEEENSI_IJLi8ELi9ELi10EEEEEEENSI_IJLi5ELi6ELi7ELi8ELi9ELi10EEEElEENS_31BlockToCTileMap_M00_N00_M01_N01ILi128ELi128ES12_Lb0EEELb0ELb1EEEvPKT0_S24_PT1_T2_T3_T4_T5_,"axG",@progbits,_ZN2ck19kernel_gemm_dl_v1r3INS_28GridwiseGemmDl_km_kn_mn_v1r3ILi256EDF16_fDF16_LNS_25InMemoryDataOperationEnumE0ENS_16TensorDescriptorINS_5TupleIJNS_5EmbedINS4_IJiiEEENS4_IJNS_17integral_constantIiLi1EEEiEEELb0EEENS_7UnMergeINS4_IJiNS7_IiLi2EEEEEELb0EEENS_11PassThroughIiEEEEENS4_IJNS_8SequenceIJLi0EEEENSI_IJLi2EEEENSI_IJLi1EEEEEEENS4_IJNSI_IJLi1ELi2EEEENSI_IJLi3ELi4EEEENSI_IJLi5EEEEEEENSI_IJLi3ELi5ELi4EEEElEENS3_INS4_IJNS5_IS6_NS4_IJiS8_EEELb0EEESE_SG_EEENS4_IJSJ_SL_SK_EEESQ_SR_lEENS3_INS4_IJSU_SG_SG_EEESW_NS4_IJSN_NSI_IJLi3EEEENSI_IJLi4EEEEEEESO_lEELi128ELi128ELi16ELi2ELi4ELi4ELi1ENSI_IJLi8ELi2EEEES13_NSI_IJLi2ELi1ELi4ELi2EEEENSI_IJLi8ELi1ELi32ELi1EEEENSI_IJLi0ELi3ELi1ELi2EEEES16_NSI_IJLi1ELi1ELi4ELi1EEEES16_NSI_IJLi1ELi1ELi4ELi2EEEES14_S15_S16_S16_S17_S16_S18_NSI_IJLi0ELi1ELi2ELi3ELi4ELi5EEEELi5ELi4EEEDF16_DF16_NS3_INS4_IJSA_SE_SG_SG_NSB_INS4_IJiNS7_IiLi128EEEEEELb0EEENSF_ISC_EEEEENS4_IJSJ_SK_SL_SZ_SP_S10_EEENS4_IJSN_SO_SP_NSI_IJLi6EEEENSI_IJLi7ELi8EEEENSI_IJLi9EEEEEEENSI_IJLi6ELi7ELi8ELi9EEEElEENS3_INS4_IJSU_SE_SG_SG_S1D_S1E_EEENS4_IJSJ_SL_SK_SZ_SP_S10_EEES1K_S1L_lEENS3_INS4_IJSU_SG_SG_NSB_INS4_IJiSC_NS7_IiLi64EEEEEELb0EEES1S_EEENS4_IJSJ_SL_SK_SZ_S10_EEENS4_IJSN_SZ_S10_NSI_IJLi5ELi6ELi7EEEENSI_IJLi8ELi9ELi10EEEEEEENSI_IJLi5ELi6ELi7ELi8ELi9ELi10EEEElEENS_31BlockToCTileMap_M00_N00_M01_N01ILi128ELi128ES12_Lb0EEELb0ELb1EEEvPKT0_S24_PT1_T2_T3_T4_T5_,comdat
	.protected	_ZN2ck19kernel_gemm_dl_v1r3INS_28GridwiseGemmDl_km_kn_mn_v1r3ILi256EDF16_fDF16_LNS_25InMemoryDataOperationEnumE0ENS_16TensorDescriptorINS_5TupleIJNS_5EmbedINS4_IJiiEEENS4_IJNS_17integral_constantIiLi1EEEiEEELb0EEENS_7UnMergeINS4_IJiNS7_IiLi2EEEEEELb0EEENS_11PassThroughIiEEEEENS4_IJNS_8SequenceIJLi0EEEENSI_IJLi2EEEENSI_IJLi1EEEEEEENS4_IJNSI_IJLi1ELi2EEEENSI_IJLi3ELi4EEEENSI_IJLi5EEEEEEENSI_IJLi3ELi5ELi4EEEElEENS3_INS4_IJNS5_IS6_NS4_IJiS8_EEELb0EEESE_SG_EEENS4_IJSJ_SL_SK_EEESQ_SR_lEENS3_INS4_IJSU_SG_SG_EEESW_NS4_IJSN_NSI_IJLi3EEEENSI_IJLi4EEEEEEESO_lEELi128ELi128ELi16ELi2ELi4ELi4ELi1ENSI_IJLi8ELi2EEEES13_NSI_IJLi2ELi1ELi4ELi2EEEENSI_IJLi8ELi1ELi32ELi1EEEENSI_IJLi0ELi3ELi1ELi2EEEES16_NSI_IJLi1ELi1ELi4ELi1EEEES16_NSI_IJLi1ELi1ELi4ELi2EEEES14_S15_S16_S16_S17_S16_S18_NSI_IJLi0ELi1ELi2ELi3ELi4ELi5EEEELi5ELi4EEEDF16_DF16_NS3_INS4_IJSA_SE_SG_SG_NSB_INS4_IJiNS7_IiLi128EEEEEELb0EEENSF_ISC_EEEEENS4_IJSJ_SK_SL_SZ_SP_S10_EEENS4_IJSN_SO_SP_NSI_IJLi6EEEENSI_IJLi7ELi8EEEENSI_IJLi9EEEEEEENSI_IJLi6ELi7ELi8ELi9EEEElEENS3_INS4_IJSU_SE_SG_SG_S1D_S1E_EEENS4_IJSJ_SL_SK_SZ_SP_S10_EEES1K_S1L_lEENS3_INS4_IJSU_SG_SG_NSB_INS4_IJiSC_NS7_IiLi64EEEEEELb0EEES1S_EEENS4_IJSJ_SL_SK_SZ_S10_EEENS4_IJSN_SZ_S10_NSI_IJLi5ELi6ELi7EEEENSI_IJLi8ELi9ELi10EEEEEEENSI_IJLi5ELi6ELi7ELi8ELi9ELi10EEEElEENS_31BlockToCTileMap_M00_N00_M01_N01ILi128ELi128ES12_Lb0EEELb0ELb1EEEvPKT0_S24_PT1_T2_T3_T4_T5_ ; -- Begin function _ZN2ck19kernel_gemm_dl_v1r3INS_28GridwiseGemmDl_km_kn_mn_v1r3ILi256EDF16_fDF16_LNS_25InMemoryDataOperationEnumE0ENS_16TensorDescriptorINS_5TupleIJNS_5EmbedINS4_IJiiEEENS4_IJNS_17integral_constantIiLi1EEEiEEELb0EEENS_7UnMergeINS4_IJiNS7_IiLi2EEEEEELb0EEENS_11PassThroughIiEEEEENS4_IJNS_8SequenceIJLi0EEEENSI_IJLi2EEEENSI_IJLi1EEEEEEENS4_IJNSI_IJLi1ELi2EEEENSI_IJLi3ELi4EEEENSI_IJLi5EEEEEEENSI_IJLi3ELi5ELi4EEEElEENS3_INS4_IJNS5_IS6_NS4_IJiS8_EEELb0EEESE_SG_EEENS4_IJSJ_SL_SK_EEESQ_SR_lEENS3_INS4_IJSU_SG_SG_EEESW_NS4_IJSN_NSI_IJLi3EEEENSI_IJLi4EEEEEEESO_lEELi128ELi128ELi16ELi2ELi4ELi4ELi1ENSI_IJLi8ELi2EEEES13_NSI_IJLi2ELi1ELi4ELi2EEEENSI_IJLi8ELi1ELi32ELi1EEEENSI_IJLi0ELi3ELi1ELi2EEEES16_NSI_IJLi1ELi1ELi4ELi1EEEES16_NSI_IJLi1ELi1ELi4ELi2EEEES14_S15_S16_S16_S17_S16_S18_NSI_IJLi0ELi1ELi2ELi3ELi4ELi5EEEELi5ELi4EEEDF16_DF16_NS3_INS4_IJSA_SE_SG_SG_NSB_INS4_IJiNS7_IiLi128EEEEEELb0EEENSF_ISC_EEEEENS4_IJSJ_SK_SL_SZ_SP_S10_EEENS4_IJSN_SO_SP_NSI_IJLi6EEEENSI_IJLi7ELi8EEEENSI_IJLi9EEEEEEENSI_IJLi6ELi7ELi8ELi9EEEElEENS3_INS4_IJSU_SE_SG_SG_S1D_S1E_EEENS4_IJSJ_SL_SK_SZ_SP_S10_EEES1K_S1L_lEENS3_INS4_IJSU_SG_SG_NSB_INS4_IJiSC_NS7_IiLi64EEEEEELb0EEES1S_EEENS4_IJSJ_SL_SK_SZ_S10_EEENS4_IJSN_SZ_S10_NSI_IJLi5ELi6ELi7EEEENSI_IJLi8ELi9ELi10EEEEEEENSI_IJLi5ELi6ELi7ELi8ELi9ELi10EEEElEENS_31BlockToCTileMap_M00_N00_M01_N01ILi128ELi128ES12_Lb0EEELb0ELb1EEEvPKT0_S24_PT1_T2_T3_T4_T5_
	.globl	_ZN2ck19kernel_gemm_dl_v1r3INS_28GridwiseGemmDl_km_kn_mn_v1r3ILi256EDF16_fDF16_LNS_25InMemoryDataOperationEnumE0ENS_16TensorDescriptorINS_5TupleIJNS_5EmbedINS4_IJiiEEENS4_IJNS_17integral_constantIiLi1EEEiEEELb0EEENS_7UnMergeINS4_IJiNS7_IiLi2EEEEEELb0EEENS_11PassThroughIiEEEEENS4_IJNS_8SequenceIJLi0EEEENSI_IJLi2EEEENSI_IJLi1EEEEEEENS4_IJNSI_IJLi1ELi2EEEENSI_IJLi3ELi4EEEENSI_IJLi5EEEEEEENSI_IJLi3ELi5ELi4EEEElEENS3_INS4_IJNS5_IS6_NS4_IJiS8_EEELb0EEESE_SG_EEENS4_IJSJ_SL_SK_EEESQ_SR_lEENS3_INS4_IJSU_SG_SG_EEESW_NS4_IJSN_NSI_IJLi3EEEENSI_IJLi4EEEEEEESO_lEELi128ELi128ELi16ELi2ELi4ELi4ELi1ENSI_IJLi8ELi2EEEES13_NSI_IJLi2ELi1ELi4ELi2EEEENSI_IJLi8ELi1ELi32ELi1EEEENSI_IJLi0ELi3ELi1ELi2EEEES16_NSI_IJLi1ELi1ELi4ELi1EEEES16_NSI_IJLi1ELi1ELi4ELi2EEEES14_S15_S16_S16_S17_S16_S18_NSI_IJLi0ELi1ELi2ELi3ELi4ELi5EEEELi5ELi4EEEDF16_DF16_NS3_INS4_IJSA_SE_SG_SG_NSB_INS4_IJiNS7_IiLi128EEEEEELb0EEENSF_ISC_EEEEENS4_IJSJ_SK_SL_SZ_SP_S10_EEENS4_IJSN_SO_SP_NSI_IJLi6EEEENSI_IJLi7ELi8EEEENSI_IJLi9EEEEEEENSI_IJLi6ELi7ELi8ELi9EEEElEENS3_INS4_IJSU_SE_SG_SG_S1D_S1E_EEENS4_IJSJ_SL_SK_SZ_SP_S10_EEES1K_S1L_lEENS3_INS4_IJSU_SG_SG_NSB_INS4_IJiSC_NS7_IiLi64EEEEEELb0EEES1S_EEENS4_IJSJ_SL_SK_SZ_S10_EEENS4_IJSN_SZ_S10_NSI_IJLi5ELi6ELi7EEEENSI_IJLi8ELi9ELi10EEEEEEENSI_IJLi5ELi6ELi7ELi8ELi9ELi10EEEElEENS_31BlockToCTileMap_M00_N00_M01_N01ILi128ELi128ES12_Lb0EEELb0ELb1EEEvPKT0_S24_PT1_T2_T3_T4_T5_
	.p2align	8
	.type	_ZN2ck19kernel_gemm_dl_v1r3INS_28GridwiseGemmDl_km_kn_mn_v1r3ILi256EDF16_fDF16_LNS_25InMemoryDataOperationEnumE0ENS_16TensorDescriptorINS_5TupleIJNS_5EmbedINS4_IJiiEEENS4_IJNS_17integral_constantIiLi1EEEiEEELb0EEENS_7UnMergeINS4_IJiNS7_IiLi2EEEEEELb0EEENS_11PassThroughIiEEEEENS4_IJNS_8SequenceIJLi0EEEENSI_IJLi2EEEENSI_IJLi1EEEEEEENS4_IJNSI_IJLi1ELi2EEEENSI_IJLi3ELi4EEEENSI_IJLi5EEEEEEENSI_IJLi3ELi5ELi4EEEElEENS3_INS4_IJNS5_IS6_NS4_IJiS8_EEELb0EEESE_SG_EEENS4_IJSJ_SL_SK_EEESQ_SR_lEENS3_INS4_IJSU_SG_SG_EEESW_NS4_IJSN_NSI_IJLi3EEEENSI_IJLi4EEEEEEESO_lEELi128ELi128ELi16ELi2ELi4ELi4ELi1ENSI_IJLi8ELi2EEEES13_NSI_IJLi2ELi1ELi4ELi2EEEENSI_IJLi8ELi1ELi32ELi1EEEENSI_IJLi0ELi3ELi1ELi2EEEES16_NSI_IJLi1ELi1ELi4ELi1EEEES16_NSI_IJLi1ELi1ELi4ELi2EEEES14_S15_S16_S16_S17_S16_S18_NSI_IJLi0ELi1ELi2ELi3ELi4ELi5EEEELi5ELi4EEEDF16_DF16_NS3_INS4_IJSA_SE_SG_SG_NSB_INS4_IJiNS7_IiLi128EEEEEELb0EEENSF_ISC_EEEEENS4_IJSJ_SK_SL_SZ_SP_S10_EEENS4_IJSN_SO_SP_NSI_IJLi6EEEENSI_IJLi7ELi8EEEENSI_IJLi9EEEEEEENSI_IJLi6ELi7ELi8ELi9EEEElEENS3_INS4_IJSU_SE_SG_SG_S1D_S1E_EEENS4_IJSJ_SL_SK_SZ_SP_S10_EEES1K_S1L_lEENS3_INS4_IJSU_SG_SG_NSB_INS4_IJiSC_NS7_IiLi64EEEEEELb0EEES1S_EEENS4_IJSJ_SL_SK_SZ_S10_EEENS4_IJSN_SZ_S10_NSI_IJLi5ELi6ELi7EEEENSI_IJLi8ELi9ELi10EEEEEEENSI_IJLi5ELi6ELi7ELi8ELi9ELi10EEEElEENS_31BlockToCTileMap_M00_N00_M01_N01ILi128ELi128ES12_Lb0EEELb0ELb1EEEvPKT0_S24_PT1_T2_T3_T4_T5_,@function
_ZN2ck19kernel_gemm_dl_v1r3INS_28GridwiseGemmDl_km_kn_mn_v1r3ILi256EDF16_fDF16_LNS_25InMemoryDataOperationEnumE0ENS_16TensorDescriptorINS_5TupleIJNS_5EmbedINS4_IJiiEEENS4_IJNS_17integral_constantIiLi1EEEiEEELb0EEENS_7UnMergeINS4_IJiNS7_IiLi2EEEEEELb0EEENS_11PassThroughIiEEEEENS4_IJNS_8SequenceIJLi0EEEENSI_IJLi2EEEENSI_IJLi1EEEEEEENS4_IJNSI_IJLi1ELi2EEEENSI_IJLi3ELi4EEEENSI_IJLi5EEEEEEENSI_IJLi3ELi5ELi4EEEElEENS3_INS4_IJNS5_IS6_NS4_IJiS8_EEELb0EEESE_SG_EEENS4_IJSJ_SL_SK_EEESQ_SR_lEENS3_INS4_IJSU_SG_SG_EEESW_NS4_IJSN_NSI_IJLi3EEEENSI_IJLi4EEEEEEESO_lEELi128ELi128ELi16ELi2ELi4ELi4ELi1ENSI_IJLi8ELi2EEEES13_NSI_IJLi2ELi1ELi4ELi2EEEENSI_IJLi8ELi1ELi32ELi1EEEENSI_IJLi0ELi3ELi1ELi2EEEES16_NSI_IJLi1ELi1ELi4ELi1EEEES16_NSI_IJLi1ELi1ELi4ELi2EEEES14_S15_S16_S16_S17_S16_S18_NSI_IJLi0ELi1ELi2ELi3ELi4ELi5EEEELi5ELi4EEEDF16_DF16_NS3_INS4_IJSA_SE_SG_SG_NSB_INS4_IJiNS7_IiLi128EEEEEELb0EEENSF_ISC_EEEEENS4_IJSJ_SK_SL_SZ_SP_S10_EEENS4_IJSN_SO_SP_NSI_IJLi6EEEENSI_IJLi7ELi8EEEENSI_IJLi9EEEEEEENSI_IJLi6ELi7ELi8ELi9EEEElEENS3_INS4_IJSU_SE_SG_SG_S1D_S1E_EEENS4_IJSJ_SL_SK_SZ_SP_S10_EEES1K_S1L_lEENS3_INS4_IJSU_SG_SG_NSB_INS4_IJiSC_NS7_IiLi64EEEEEELb0EEES1S_EEENS4_IJSJ_SL_SK_SZ_S10_EEENS4_IJSN_SZ_S10_NSI_IJLi5ELi6ELi7EEEENSI_IJLi8ELi9ELi10EEEEEEENSI_IJLi5ELi6ELi7ELi8ELi9ELi10EEEElEENS_31BlockToCTileMap_M00_N00_M01_N01ILi128ELi128ES12_Lb0EEELb0ELb1EEEvPKT0_S24_PT1_T2_T3_T4_T5_: ; @_ZN2ck19kernel_gemm_dl_v1r3INS_28GridwiseGemmDl_km_kn_mn_v1r3ILi256EDF16_fDF16_LNS_25InMemoryDataOperationEnumE0ENS_16TensorDescriptorINS_5TupleIJNS_5EmbedINS4_IJiiEEENS4_IJNS_17integral_constantIiLi1EEEiEEELb0EEENS_7UnMergeINS4_IJiNS7_IiLi2EEEEEELb0EEENS_11PassThroughIiEEEEENS4_IJNS_8SequenceIJLi0EEEENSI_IJLi2EEEENSI_IJLi1EEEEEEENS4_IJNSI_IJLi1ELi2EEEENSI_IJLi3ELi4EEEENSI_IJLi5EEEEEEENSI_IJLi3ELi5ELi4EEEElEENS3_INS4_IJNS5_IS6_NS4_IJiS8_EEELb0EEESE_SG_EEENS4_IJSJ_SL_SK_EEESQ_SR_lEENS3_INS4_IJSU_SG_SG_EEESW_NS4_IJSN_NSI_IJLi3EEEENSI_IJLi4EEEEEEESO_lEELi128ELi128ELi16ELi2ELi4ELi4ELi1ENSI_IJLi8ELi2EEEES13_NSI_IJLi2ELi1ELi4ELi2EEEENSI_IJLi8ELi1ELi32ELi1EEEENSI_IJLi0ELi3ELi1ELi2EEEES16_NSI_IJLi1ELi1ELi4ELi1EEEES16_NSI_IJLi1ELi1ELi4ELi2EEEES14_S15_S16_S16_S17_S16_S18_NSI_IJLi0ELi1ELi2ELi3ELi4ELi5EEEELi5ELi4EEEDF16_DF16_NS3_INS4_IJSA_SE_SG_SG_NSB_INS4_IJiNS7_IiLi128EEEEEELb0EEENSF_ISC_EEEEENS4_IJSJ_SK_SL_SZ_SP_S10_EEENS4_IJSN_SO_SP_NSI_IJLi6EEEENSI_IJLi7ELi8EEEENSI_IJLi9EEEEEEENSI_IJLi6ELi7ELi8ELi9EEEElEENS3_INS4_IJSU_SE_SG_SG_S1D_S1E_EEENS4_IJSJ_SL_SK_SZ_SP_S10_EEES1K_S1L_lEENS3_INS4_IJSU_SG_SG_NSB_INS4_IJiSC_NS7_IiLi64EEEEEELb0EEES1S_EEENS4_IJSJ_SL_SK_SZ_S10_EEENS4_IJSN_SZ_S10_NSI_IJLi5ELi6ELi7EEEENSI_IJLi8ELi9ELi10EEEEEEENSI_IJLi5ELi6ELi7ELi8ELi9ELi10EEEElEENS_31BlockToCTileMap_M00_N00_M01_N01ILi128ELi128ES12_Lb0EEELb0ELb1EEEvPKT0_S24_PT1_T2_T3_T4_T5_
; %bb.0:
	s_load_dwordx4 s[12:15], s[4:5], 0x0
	s_load_dwordx2 s[0:1], s[4:5], 0x10
	s_load_dwordx4 s[8:11], s[4:5], 0x108
	s_load_dwordx4 s[20:23], s[4:5], 0x11c
	;; [unrolled: 1-line block ×3, first 2 shown]
	s_load_dword s19, s[4:5], 0x24
	s_load_dword s7, s[4:5], 0x50
	;; [unrolled: 1-line block ×8, first 2 shown]
	s_waitcnt lgkmcnt(0)
	s_mul_hi_u32 s4, s23, s6
	s_add_i32 s4, s6, s4
	s_lshr_b32 s4, s4, s27
	s_mul_i32 s5, s4, s11
	s_sub_i32 s5, s6, s5
	s_mul_hi_u32 s6, s4, s22
	s_add_i32 s6, s4, s6
	s_lshr_b32 s6, s6, s26
	s_mul_i32 s10, s6, s10
	s_sub_i32 s4, s4, s10
	;; [unrolled: 5-line block ×4, first 2 shown]
	s_mul_i32 s6, s6, s17
	s_mul_i32 s8, s8, s3
	s_add_i32 s6, s5, s6
	s_add_i32 s4, s4, s8
	v_lshrrev_b32_e32 v1, 4, v0
	v_lshlrev_b32_e32 v24, 2, v0
	v_and_b32_e32 v1, 14, v1
	v_and_b32_e32 v22, 0x7c, v24
	s_lshl_b32 s17, s4, 7
	s_lshl_b32 s3, s6, 7
	v_or_b32_e32 v2, s17, v22
	v_lshlrev_b32_e32 v5, 1, v1
	v_or_b32_e32 v4, s3, v22
	v_mad_u64_u32 v[2:3], s[4:5], s19, v5, v[2:3]
	v_mad_u64_u32 v[4:5], s[4:5], s18, v5, v[4:5]
	s_lshl_b32 s6, s7, 1
	s_mov_b32 s7, 0x20000
	s_mov_b32 s4, s12
	v_add_u32_e32 v6, s18, v4
	s_lshl_b32 s12, s18, 1
	s_mov_b32 s5, s13
	v_add_u32_e32 v5, s19, v2
	s_lshl_b32 s10, s28, 1
	s_mov_b32 s8, s14
	s_mov_b32 s9, s15
	s_mov_b32 s11, s7
	v_lshlrev_b32_e32 v10, 1, v4
	v_add_u32_e32 v23, s12, v6
	v_add_u32_e32 v25, s12, v4
	s_lshl_b32 s13, s19, 1
	v_lshlrev_b32_e32 v3, 1, v2
	v_lshlrev_b32_e32 v11, 1, v6
	;; [unrolled: 1-line block ×3, first 2 shown]
	buffer_load_dwordx2 v[6:7], v10, s[8:11], 0 offen
	buffer_load_dwordx2 v[8:9], v11, s[8:11], 0 offen
	v_lshlrev_b32_e32 v4, 1, v25
	v_add_u32_e32 v26, s13, v5
	buffer_load_dwordx2 v[10:11], v14, s[8:11], 0 offen
	buffer_load_dwordx2 v[12:13], v4, s[8:11], 0 offen
	v_lshlrev_b32_e32 v4, 1, v5
	v_lshlrev_b32_e32 v5, 1, v26
	buffer_load_dwordx2 v[14:15], v3, s[4:7], 0 offen
	buffer_load_dwordx2 v[16:17], v4, s[4:7], 0 offen
	v_add_u32_e32 v27, s13, v2
	v_lshlrev_b32_e32 v2, 1, v27
	buffer_load_dwordx2 v[18:19], v5, s[4:7], 0 offen
	buffer_load_dwordx2 v[20:21], v2, s[4:7], 0 offen
	s_mov_b32 s14, 0x7060302
	s_mov_b32 s15, 0x5040100
	v_lshlrev_b32_e32 v2, 2, v22
	v_lshl_or_b32 v84, v1, 9, v2
	s_mul_i32 s20, s19, 30
	s_mul_i32 s21, s18, 30
	v_add_lshl_u32 v1, v27, s20, 1
	v_mov_b32_e32 v50, 0
	v_mov_b32_e32 v49, 0
	;; [unrolled: 1-line block ×53, first 2 shown]
	s_lshl_b32 s2, s2, 1
	s_waitcnt vmcnt(6)
	v_perm_b32 v3, v8, v6, s14
	v_perm_b32 v2, v8, v6, s15
	;; [unrolled: 1-line block ×4, first 2 shown]
	s_waitcnt vmcnt(4)
	v_perm_b32 v9, v11, v13, s14
	v_perm_b32 v7, v10, v12, s14
	;; [unrolled: 1-line block ×4, first 2 shown]
	ds_write_b128 v84, v[2:5] offset:16384
	ds_write_b128 v84, v[6:9] offset:16896
	s_waitcnt vmcnt(2)
	v_perm_b32 v3, v16, v14, s14
	v_perm_b32 v2, v16, v14, s15
	;; [unrolled: 1-line block ×4, first 2 shown]
	s_waitcnt vmcnt(0)
	v_perm_b32 v9, v19, v21, s14
	v_perm_b32 v7, v18, v20, s14
	;; [unrolled: 1-line block ×4, first 2 shown]
	ds_write_b128 v84, v[2:5]
	ds_write_b128 v84, v[6:9] offset:512
	v_add_u32_e32 v2, s20, v26
	v_lshlrev_b32_e32 v10, 1, v2
	v_add_u32_e32 v2, s13, v2
	v_lshlrev_b32_e32 v11, 1, v2
	v_subrev_u32_e32 v2, s19, v2
	s_waitcnt lgkmcnt(0)
	s_barrier
	v_lshlrev_b32_e32 v12, 1, v2
	buffer_load_dwordx2 v[2:3], v1, s[4:7], 0 offen
	buffer_load_dwordx2 v[4:5], v10, s[4:7], 0 offen
	;; [unrolled: 1-line block ×4, first 2 shown]
	v_add_u32_e32 v10, s21, v23
	v_add_lshl_u32 v1, v25, s21, 1
	v_add_u32_e32 v15, s12, v10
	v_lshlrev_b32_e32 v14, 1, v10
	v_lshlrev_b32_e32 v16, 1, v15
	buffer_load_dwordx2 v[10:11], v1, s[8:11], 0 offen
	buffer_load_dwordx2 v[12:13], v14, s[8:11], 0 offen
	v_subrev_u32_e32 v1, s18, v15
	v_lshlrev_b32_e32 v1, 1, v1
	buffer_load_dwordx2 v[14:15], v16, s[8:11], 0 offen
	buffer_load_dwordx2 v[22:23], v1, s[8:11], 0 offen
	v_lshrrev_b32_e32 v1, 5, v0
	v_lshlrev_b32_e32 v0, 1, v0
	v_and_b32_e32 v18, 0x1f8, v0
	v_and_b32_e32 v0, 0x1fc, v0
	v_lshlrev_b32_e32 v17, 6, v1
	v_sub_u32_e32 v0, v0, v18
	v_sub_u32_e32 v17, v18, v17
	v_lshl_add_u32 v70, v1, 3, v0
	v_and_or_b32 v69, v24, 4, v17
	v_lshlrev_b32_e32 v82, 2, v70
	v_lshlrev_b32_e32 v83, 2, v69
	ds_read_b128 v[18:21], v82
	ds_read_b128 v[86:89], v83 offset:16384
	ds_read_b128 v[90:93], v83 offset:16640
	;; [unrolled: 1-line block ×3, first 2 shown]
	v_mov_b32_e32 v16, 0
	v_mov_b32_e32 v17, 0
	v_mov_b32_e32 v25, 0
	s_waitcnt lgkmcnt(2)
	v_dot2c_f32_f16_e32 v50, v18, v86
	v_dot2c_f32_f16_e32 v49, v18, v87
	;; [unrolled: 1-line block ×16, first 2 shown]
	s_waitcnt lgkmcnt(1)
	v_dot2c_f32_f16_e32 v79, v18, v90
	v_dot2c_f32_f16_e32 v77, v18, v91
	v_dot2c_f32_f16_e32 v80, v18, v92
	v_dot2c_f32_f16_e32 v81, v18, v93
	v_dot2c_f32_f16_e32 v75, v19, v90
	v_dot2c_f32_f16_e32 v74, v19, v91
	v_dot2c_f32_f16_e32 v76, v19, v92
	v_dot2c_f32_f16_e32 v78, v19, v93
	v_dot2c_f32_f16_e32 v62, v20, v90
	v_dot2c_f32_f16_e32 v58, v20, v91
	v_dot2c_f32_f16_e32 v65, v20, v92
	v_dot2c_f32_f16_e32 v67, v20, v93
	v_dot2c_f32_f16_e32 v54, v21, v90
	v_dot2c_f32_f16_e32 v53, v21, v91
	v_dot2c_f32_f16_e32 v56, v21, v92
	v_dot2c_f32_f16_e32 v59, v21, v93
	v_mov_b32_e32 v18, 0
	v_mov_b32_e32 v19, 0
	;; [unrolled: 1-line block ×6, first 2 shown]
	ds_read_b128 v[98:101], v82 offset:512
	s_waitcnt lgkmcnt(1)
	v_dot2c_f32_f16_e32 v18, v94, v86
	v_dot2c_f32_f16_e32 v17, v94, v87
	;; [unrolled: 1-line block ×13, first 2 shown]
	s_waitcnt vmcnt(6)
	v_perm_b32 v1, v4, v2, s14
	v_perm_b32 v0, v4, v2, s15
	v_perm_b32 v2, v5, v3, s15
	v_perm_b32 v3, v5, v3, s14
	s_waitcnt vmcnt(4)
	v_perm_b32 v5, v6, v8, s14
	v_perm_b32 v4, v6, v8, s15
	v_perm_b32 v6, v7, v9, s15
	v_perm_b32 v7, v7, v9, s14
	;; [unrolled: 5-line block ×4, first 2 shown]
	v_mov_b32_e32 v23, 0
	v_mov_b32_e32 v22, 0
	v_dot2c_f32_f16_e32 v23, v95, v87
	v_dot2c_f32_f16_e32 v66, v97, v88
	;; [unrolled: 1-line block ×3, first 2 shown]
	ds_read_b128 v[86:89], v83 offset:16896
	v_dot2c_f32_f16_e32 v22, v94, v90
	v_dot2c_f32_f16_e32 v21, v94, v91
	v_dot2c_f32_f16_e32 v24, v94, v92
	v_dot2c_f32_f16_e32 v26, v94, v93
	v_dot2c_f32_f16_e32 v35, v95, v90
	v_dot2c_f32_f16_e32 v32, v95, v91
	v_dot2c_f32_f16_e32 v40, v95, v92
	v_dot2c_f32_f16_e32 v42, v95, v93
	v_dot2c_f32_f16_e32 v57, v96, v90
	v_dot2c_f32_f16_e32 v55, v96, v91
	v_dot2c_f32_f16_e32 v61, v96, v92
	v_dot2c_f32_f16_e32 v64, v96, v93
	v_dot2c_f32_f16_e32 v72, v97, v90
	v_dot2c_f32_f16_e32 v71, v97, v91
	v_dot2c_f32_f16_e32 v73, v97, v92
	v_dot2c_f32_f16_e32 v16, v97, v93
	ds_read_b128 v[90:93], v83 offset:17152
	ds_read_b128 v[94:97], v82 offset:768
	s_waitcnt lgkmcnt(2)
	v_dot2c_f32_f16_e32 v50, v98, v86
	v_dot2c_f32_f16_e32 v49, v98, v87
	;; [unrolled: 1-line block ×16, first 2 shown]
	s_waitcnt lgkmcnt(1)
	v_dot2c_f32_f16_e32 v79, v98, v90
	v_dot2c_f32_f16_e32 v77, v98, v91
	;; [unrolled: 1-line block ×16, first 2 shown]
	ds_read_b128 v[98:101], v82 offset:1024
	s_waitcnt lgkmcnt(1)
	v_dot2c_f32_f16_e32 v18, v94, v86
	v_dot2c_f32_f16_e32 v17, v94, v87
	;; [unrolled: 1-line block ×16, first 2 shown]
	ds_read_b128 v[86:89], v83 offset:17408
	v_dot2c_f32_f16_e32 v22, v94, v90
	v_dot2c_f32_f16_e32 v21, v94, v91
	;; [unrolled: 1-line block ×16, first 2 shown]
	ds_read_b128 v[90:93], v83 offset:17664
	ds_read_b128 v[94:97], v82 offset:1280
	s_waitcnt lgkmcnt(2)
	v_dot2c_f32_f16_e32 v50, v98, v86
	v_dot2c_f32_f16_e32 v49, v98, v87
	;; [unrolled: 1-line block ×16, first 2 shown]
	s_waitcnt lgkmcnt(1)
	v_dot2c_f32_f16_e32 v79, v98, v90
	v_dot2c_f32_f16_e32 v77, v98, v91
	;; [unrolled: 1-line block ×16, first 2 shown]
	ds_read_b128 v[98:101], v82 offset:1536
	s_waitcnt lgkmcnt(1)
	v_dot2c_f32_f16_e32 v18, v94, v86
	v_dot2c_f32_f16_e32 v17, v94, v87
	;; [unrolled: 1-line block ×16, first 2 shown]
	ds_read_b128 v[86:89], v83 offset:17920
	v_dot2c_f32_f16_e32 v22, v94, v90
	v_dot2c_f32_f16_e32 v21, v94, v91
	;; [unrolled: 1-line block ×16, first 2 shown]
	ds_read_b128 v[90:93], v83 offset:18176
	ds_read_b128 v[94:97], v82 offset:1792
	s_waitcnt lgkmcnt(2)
	v_dot2c_f32_f16_e32 v50, v98, v86
	v_dot2c_f32_f16_e32 v49, v98, v87
	v_dot2c_f32_f16_e32 v51, v98, v88
	v_dot2c_f32_f16_e32 v52, v98, v89
	v_dot2c_f32_f16_e32 v33, v99, v86
	v_dot2c_f32_f16_e32 v31, v99, v87
	v_dot2c_f32_f16_e32 v36, v99, v88
	v_dot2c_f32_f16_e32 v38, v99, v89
	v_dot2c_f32_f16_e32 v30, v100, v86
	v_dot2c_f32_f16_e32 v29, v100, v87
	v_dot2c_f32_f16_e32 v47, v100, v88
	v_dot2c_f32_f16_e32 v48, v100, v89
	v_dot2c_f32_f16_e32 v39, v101, v86
	v_dot2c_f32_f16_e32 v34, v101, v87
	v_dot2c_f32_f16_e32 v43, v101, v88
	v_dot2c_f32_f16_e32 v44, v101, v89
	s_waitcnt lgkmcnt(1)
	v_dot2c_f32_f16_e32 v79, v98, v90
	v_dot2c_f32_f16_e32 v77, v98, v91
	;; [unrolled: 1-line block ×16, first 2 shown]
	ds_read_b128 v[98:101], v82 offset:2048
	s_waitcnt lgkmcnt(1)
	v_dot2c_f32_f16_e32 v18, v94, v86
	v_dot2c_f32_f16_e32 v17, v94, v87
	;; [unrolled: 1-line block ×16, first 2 shown]
	ds_read_b128 v[86:89], v83 offset:18432
	v_dot2c_f32_f16_e32 v22, v94, v90
	v_dot2c_f32_f16_e32 v21, v94, v91
	;; [unrolled: 1-line block ×16, first 2 shown]
	ds_read_b128 v[90:93], v83 offset:18688
	ds_read_b128 v[94:97], v82 offset:2304
	s_waitcnt lgkmcnt(2)
	v_dot2c_f32_f16_e32 v50, v98, v86
	v_dot2c_f32_f16_e32 v49, v98, v87
	;; [unrolled: 1-line block ×16, first 2 shown]
	s_waitcnt lgkmcnt(1)
	v_dot2c_f32_f16_e32 v79, v98, v90
	v_dot2c_f32_f16_e32 v77, v98, v91
	;; [unrolled: 1-line block ×16, first 2 shown]
	ds_read_b128 v[98:101], v82 offset:2560
	s_waitcnt lgkmcnt(1)
	v_dot2c_f32_f16_e32 v18, v94, v86
	v_dot2c_f32_f16_e32 v17, v94, v87
	;; [unrolled: 1-line block ×16, first 2 shown]
	ds_read_b128 v[86:89], v83 offset:18944
	v_dot2c_f32_f16_e32 v22, v94, v90
	v_dot2c_f32_f16_e32 v21, v94, v91
	;; [unrolled: 1-line block ×16, first 2 shown]
	ds_read_b128 v[90:93], v83 offset:19200
	ds_read_b128 v[94:97], v82 offset:2816
	s_waitcnt lgkmcnt(2)
	v_dot2c_f32_f16_e32 v50, v98, v86
	v_dot2c_f32_f16_e32 v49, v98, v87
	;; [unrolled: 1-line block ×16, first 2 shown]
	s_waitcnt lgkmcnt(1)
	v_dot2c_f32_f16_e32 v79, v98, v90
	v_dot2c_f32_f16_e32 v77, v98, v91
	;; [unrolled: 1-line block ×16, first 2 shown]
	ds_read_b128 v[98:101], v82 offset:3072
	s_waitcnt lgkmcnt(1)
	v_dot2c_f32_f16_e32 v18, v94, v86
	v_dot2c_f32_f16_e32 v17, v94, v87
	;; [unrolled: 1-line block ×16, first 2 shown]
	ds_read_b128 v[86:89], v83 offset:19456
	v_dot2c_f32_f16_e32 v22, v94, v90
	v_dot2c_f32_f16_e32 v21, v94, v91
	;; [unrolled: 1-line block ×16, first 2 shown]
	ds_read_b128 v[90:93], v83 offset:19712
	ds_read_b128 v[94:97], v82 offset:3328
	s_waitcnt lgkmcnt(2)
	v_dot2c_f32_f16_e32 v50, v98, v86
	v_dot2c_f32_f16_e32 v49, v98, v87
	v_dot2c_f32_f16_e32 v51, v98, v88
	v_dot2c_f32_f16_e32 v52, v98, v89
	v_dot2c_f32_f16_e32 v33, v99, v86
	v_dot2c_f32_f16_e32 v31, v99, v87
	v_dot2c_f32_f16_e32 v36, v99, v88
	v_dot2c_f32_f16_e32 v38, v99, v89
	v_dot2c_f32_f16_e32 v30, v100, v86
	v_dot2c_f32_f16_e32 v29, v100, v87
	v_dot2c_f32_f16_e32 v47, v100, v88
	v_dot2c_f32_f16_e32 v48, v100, v89
	v_dot2c_f32_f16_e32 v39, v101, v86
	v_dot2c_f32_f16_e32 v34, v101, v87
	v_dot2c_f32_f16_e32 v43, v101, v88
	v_dot2c_f32_f16_e32 v44, v101, v89
	s_waitcnt lgkmcnt(1)
	v_dot2c_f32_f16_e32 v79, v98, v90
	v_dot2c_f32_f16_e32 v77, v98, v91
	;; [unrolled: 1-line block ×16, first 2 shown]
	ds_read_b128 v[98:101], v82 offset:3584
	s_waitcnt lgkmcnt(1)
	v_dot2c_f32_f16_e32 v18, v94, v86
	v_dot2c_f32_f16_e32 v17, v94, v87
	;; [unrolled: 1-line block ×16, first 2 shown]
	ds_read_b128 v[86:89], v83 offset:19968
	v_dot2c_f32_f16_e32 v22, v94, v90
	v_dot2c_f32_f16_e32 v21, v94, v91
	;; [unrolled: 1-line block ×16, first 2 shown]
	ds_read_b128 v[90:93], v83 offset:20224
	ds_read_b128 v[94:97], v82 offset:3840
	s_waitcnt lgkmcnt(2)
	v_dot2c_f32_f16_e32 v50, v98, v86
	v_dot2c_f32_f16_e32 v49, v98, v87
	v_dot2c_f32_f16_e32 v51, v98, v88
	v_dot2c_f32_f16_e32 v52, v98, v89
	v_dot2c_f32_f16_e32 v33, v99, v86
	v_dot2c_f32_f16_e32 v31, v99, v87
	v_dot2c_f32_f16_e32 v36, v99, v88
	v_dot2c_f32_f16_e32 v38, v99, v89
	v_dot2c_f32_f16_e32 v30, v100, v86
	v_dot2c_f32_f16_e32 v29, v100, v87
	v_dot2c_f32_f16_e32 v47, v100, v88
	v_dot2c_f32_f16_e32 v48, v100, v89
	v_dot2c_f32_f16_e32 v39, v101, v86
	v_dot2c_f32_f16_e32 v34, v101, v87
	v_dot2c_f32_f16_e32 v43, v101, v88
	v_dot2c_f32_f16_e32 v44, v101, v89
	s_waitcnt lgkmcnt(1)
	v_dot2c_f32_f16_e32 v79, v98, v90
	v_dot2c_f32_f16_e32 v77, v98, v91
	;; [unrolled: 1-line block ×16, first 2 shown]
	ds_read_b128 v[98:101], v82 offset:4096
	s_waitcnt lgkmcnt(1)
	v_dot2c_f32_f16_e32 v18, v94, v86
	v_dot2c_f32_f16_e32 v17, v94, v87
	;; [unrolled: 1-line block ×16, first 2 shown]
	ds_read_b128 v[86:89], v83 offset:20480
	v_dot2c_f32_f16_e32 v22, v94, v90
	v_dot2c_f32_f16_e32 v21, v94, v91
	;; [unrolled: 1-line block ×16, first 2 shown]
	ds_read_b128 v[90:93], v83 offset:20736
	ds_read_b128 v[94:97], v82 offset:4352
	s_waitcnt lgkmcnt(2)
	v_dot2c_f32_f16_e32 v50, v98, v86
	v_dot2c_f32_f16_e32 v49, v98, v87
	;; [unrolled: 1-line block ×16, first 2 shown]
	s_waitcnt lgkmcnt(1)
	v_dot2c_f32_f16_e32 v79, v98, v90
	v_dot2c_f32_f16_e32 v77, v98, v91
	;; [unrolled: 1-line block ×16, first 2 shown]
	ds_read_b128 v[98:101], v82 offset:4608
	s_waitcnt lgkmcnt(1)
	v_dot2c_f32_f16_e32 v18, v94, v86
	v_dot2c_f32_f16_e32 v17, v94, v87
	;; [unrolled: 1-line block ×16, first 2 shown]
	ds_read_b128 v[86:89], v83 offset:20992
	v_dot2c_f32_f16_e32 v22, v94, v90
	v_dot2c_f32_f16_e32 v21, v94, v91
	;; [unrolled: 1-line block ×16, first 2 shown]
	ds_read_b128 v[90:93], v83 offset:21248
	ds_read_b128 v[94:97], v82 offset:4864
	s_waitcnt lgkmcnt(2)
	v_dot2c_f32_f16_e32 v50, v98, v86
	v_dot2c_f32_f16_e32 v49, v98, v87
	;; [unrolled: 1-line block ×16, first 2 shown]
	s_waitcnt lgkmcnt(1)
	v_dot2c_f32_f16_e32 v79, v98, v90
	v_dot2c_f32_f16_e32 v77, v98, v91
	;; [unrolled: 1-line block ×16, first 2 shown]
	ds_read_b128 v[98:101], v82 offset:5120
	s_waitcnt lgkmcnt(1)
	v_dot2c_f32_f16_e32 v18, v94, v86
	v_dot2c_f32_f16_e32 v17, v94, v87
	;; [unrolled: 1-line block ×16, first 2 shown]
	ds_read_b128 v[86:89], v83 offset:21504
	v_dot2c_f32_f16_e32 v22, v94, v90
	v_dot2c_f32_f16_e32 v21, v94, v91
	;; [unrolled: 1-line block ×16, first 2 shown]
	ds_read_b128 v[90:93], v83 offset:21760
	ds_read_b128 v[94:97], v82 offset:5376
	s_waitcnt lgkmcnt(2)
	v_dot2c_f32_f16_e32 v50, v98, v86
	v_dot2c_f32_f16_e32 v49, v98, v87
	;; [unrolled: 1-line block ×16, first 2 shown]
	s_waitcnt lgkmcnt(1)
	v_dot2c_f32_f16_e32 v79, v98, v90
	v_dot2c_f32_f16_e32 v77, v98, v91
	v_dot2c_f32_f16_e32 v80, v98, v92
	v_dot2c_f32_f16_e32 v81, v98, v93
	v_dot2c_f32_f16_e32 v75, v99, v90
	v_dot2c_f32_f16_e32 v74, v99, v91
	v_dot2c_f32_f16_e32 v76, v99, v92
	v_dot2c_f32_f16_e32 v78, v99, v93
	v_dot2c_f32_f16_e32 v62, v100, v90
	v_dot2c_f32_f16_e32 v58, v100, v91
	v_dot2c_f32_f16_e32 v65, v100, v92
	v_dot2c_f32_f16_e32 v67, v100, v93
	v_dot2c_f32_f16_e32 v54, v101, v90
	v_dot2c_f32_f16_e32 v53, v101, v91
	v_dot2c_f32_f16_e32 v56, v101, v92
	v_dot2c_f32_f16_e32 v59, v101, v93
	ds_read_b128 v[98:101], v82 offset:5632
	s_waitcnt lgkmcnt(1)
	v_dot2c_f32_f16_e32 v18, v94, v86
	v_dot2c_f32_f16_e32 v17, v94, v87
	v_dot2c_f32_f16_e32 v19, v94, v88
	v_dot2c_f32_f16_e32 v20, v94, v89
	v_dot2c_f32_f16_e32 v25, v95, v86
	v_dot2c_f32_f16_e32 v23, v95, v87
	v_dot2c_f32_f16_e32 v27, v95, v88
	v_dot2c_f32_f16_e32 v28, v95, v89
	v_dot2c_f32_f16_e32 v41, v96, v86
	v_dot2c_f32_f16_e32 v37, v96, v87
	v_dot2c_f32_f16_e32 v45, v96, v88
	v_dot2c_f32_f16_e32 v46, v96, v89
	v_dot2c_f32_f16_e32 v63, v97, v86
	v_dot2c_f32_f16_e32 v60, v97, v87
	v_dot2c_f32_f16_e32 v66, v97, v88
	v_dot2c_f32_f16_e32 v68, v97, v89
	ds_read_b128 v[86:89], v83 offset:22016
	v_dot2c_f32_f16_e32 v22, v94, v90
	v_dot2c_f32_f16_e32 v21, v94, v91
	;; [unrolled: 1-line block ×16, first 2 shown]
	ds_read_b128 v[90:93], v83 offset:22272
	ds_read_b128 v[94:97], v82 offset:5888
	s_waitcnt lgkmcnt(2)
	v_dot2c_f32_f16_e32 v50, v98, v86
	v_dot2c_f32_f16_e32 v49, v98, v87
	;; [unrolled: 1-line block ×16, first 2 shown]
	s_waitcnt lgkmcnt(1)
	v_dot2c_f32_f16_e32 v79, v98, v90
	v_dot2c_f32_f16_e32 v77, v98, v91
	;; [unrolled: 1-line block ×16, first 2 shown]
	ds_read_b128 v[98:101], v82 offset:6144
	s_waitcnt lgkmcnt(1)
	v_dot2c_f32_f16_e32 v18, v94, v86
	v_dot2c_f32_f16_e32 v17, v94, v87
	;; [unrolled: 1-line block ×16, first 2 shown]
	ds_read_b128 v[86:89], v83 offset:22528
	v_dot2c_f32_f16_e32 v22, v94, v90
	v_dot2c_f32_f16_e32 v21, v94, v91
	;; [unrolled: 1-line block ×16, first 2 shown]
	ds_read_b128 v[90:93], v83 offset:22784
	ds_read_b128 v[94:97], v82 offset:6400
	s_waitcnt lgkmcnt(2)
	v_dot2c_f32_f16_e32 v50, v98, v86
	v_dot2c_f32_f16_e32 v49, v98, v87
	;; [unrolled: 1-line block ×16, first 2 shown]
	s_waitcnt lgkmcnt(1)
	v_dot2c_f32_f16_e32 v79, v98, v90
	v_dot2c_f32_f16_e32 v77, v98, v91
	;; [unrolled: 1-line block ×16, first 2 shown]
	ds_read_b128 v[98:101], v82 offset:6656
	s_waitcnt lgkmcnt(1)
	v_dot2c_f32_f16_e32 v18, v94, v86
	v_dot2c_f32_f16_e32 v17, v94, v87
	;; [unrolled: 1-line block ×16, first 2 shown]
	ds_read_b128 v[86:89], v83 offset:23040
	v_dot2c_f32_f16_e32 v22, v94, v90
	v_dot2c_f32_f16_e32 v21, v94, v91
	;; [unrolled: 1-line block ×16, first 2 shown]
	ds_read_b128 v[90:93], v83 offset:23296
	ds_read_b128 v[94:97], v82 offset:6912
	s_waitcnt lgkmcnt(2)
	v_dot2c_f32_f16_e32 v50, v98, v86
	v_dot2c_f32_f16_e32 v49, v98, v87
	;; [unrolled: 1-line block ×16, first 2 shown]
	s_waitcnt lgkmcnt(1)
	v_dot2c_f32_f16_e32 v79, v98, v90
	v_dot2c_f32_f16_e32 v77, v98, v91
	;; [unrolled: 1-line block ×16, first 2 shown]
	ds_read_b128 v[98:101], v82 offset:7168
	s_waitcnt lgkmcnt(1)
	v_dot2c_f32_f16_e32 v18, v94, v86
	v_dot2c_f32_f16_e32 v17, v94, v87
	v_dot2c_f32_f16_e32 v19, v94, v88
	v_dot2c_f32_f16_e32 v20, v94, v89
	v_dot2c_f32_f16_e32 v25, v95, v86
	v_dot2c_f32_f16_e32 v23, v95, v87
	v_dot2c_f32_f16_e32 v27, v95, v88
	v_dot2c_f32_f16_e32 v28, v95, v89
	v_dot2c_f32_f16_e32 v41, v96, v86
	v_dot2c_f32_f16_e32 v37, v96, v87
	v_dot2c_f32_f16_e32 v45, v96, v88
	v_dot2c_f32_f16_e32 v46, v96, v89
	v_dot2c_f32_f16_e32 v63, v97, v86
	v_dot2c_f32_f16_e32 v60, v97, v87
	v_dot2c_f32_f16_e32 v66, v97, v88
	v_dot2c_f32_f16_e32 v68, v97, v89
	ds_read_b128 v[86:89], v83 offset:23552
	v_dot2c_f32_f16_e32 v22, v94, v90
	v_dot2c_f32_f16_e32 v21, v94, v91
	v_dot2c_f32_f16_e32 v24, v94, v92
	v_dot2c_f32_f16_e32 v26, v94, v93
	v_dot2c_f32_f16_e32 v35, v95, v90
	v_dot2c_f32_f16_e32 v32, v95, v91
	v_dot2c_f32_f16_e32 v40, v95, v92
	v_dot2c_f32_f16_e32 v42, v95, v93
	v_dot2c_f32_f16_e32 v57, v96, v90
	v_dot2c_f32_f16_e32 v55, v96, v91
	v_dot2c_f32_f16_e32 v61, v96, v92
	v_dot2c_f32_f16_e32 v64, v96, v93
	v_dot2c_f32_f16_e32 v72, v97, v90
	v_dot2c_f32_f16_e32 v71, v97, v91
	v_dot2c_f32_f16_e32 v73, v97, v92
	v_dot2c_f32_f16_e32 v16, v97, v93
	ds_read_b128 v[90:93], v83 offset:23808
	ds_read_b128 v[94:97], v82 offset:7424
	s_waitcnt lgkmcnt(2)
	v_dot2c_f32_f16_e32 v50, v98, v86
	v_dot2c_f32_f16_e32 v49, v98, v87
	;; [unrolled: 1-line block ×16, first 2 shown]
	s_waitcnt lgkmcnt(1)
	v_dot2c_f32_f16_e32 v79, v98, v90
	v_dot2c_f32_f16_e32 v77, v98, v91
	;; [unrolled: 1-line block ×16, first 2 shown]
	ds_read_b128 v[98:101], v82 offset:7680
	s_waitcnt lgkmcnt(1)
	v_dot2c_f32_f16_e32 v18, v94, v86
	v_dot2c_f32_f16_e32 v17, v94, v87
	;; [unrolled: 1-line block ×16, first 2 shown]
	ds_read_b128 v[86:89], v83 offset:24064
	v_dot2c_f32_f16_e32 v22, v94, v90
	v_dot2c_f32_f16_e32 v21, v94, v91
	;; [unrolled: 1-line block ×16, first 2 shown]
	ds_read_b128 v[90:93], v83 offset:24320
	ds_read_b128 v[94:97], v82 offset:7936
	ds_write_b128 v84, v[0:3] offset:8192
	ds_write_b128 v84, v[4:7] offset:8704
	;; [unrolled: 1-line block ×4, first 2 shown]
	s_waitcnt lgkmcnt(0)
	s_barrier
	ds_read_b128 v[0:3], v82 offset:8192
	ds_read_b128 v[4:7], v83 offset:24576
	;; [unrolled: 1-line block ×4, first 2 shown]
	v_dot2c_f32_f16_e32 v50, v98, v86
	v_dot2c_f32_f16_e32 v49, v98, v87
	;; [unrolled: 1-line block ×64, first 2 shown]
	s_waitcnt lgkmcnt(2)
	v_dot2c_f32_f16_e32 v50, v0, v4
	v_dot2c_f32_f16_e32 v49, v0, v5
	;; [unrolled: 1-line block ×16, first 2 shown]
	s_waitcnt lgkmcnt(1)
	v_dot2c_f32_f16_e32 v79, v0, v8
	v_dot2c_f32_f16_e32 v77, v0, v9
	;; [unrolled: 1-line block ×16, first 2 shown]
	ds_read_b128 v[0:3], v82 offset:8704
	s_waitcnt lgkmcnt(1)
	v_dot2c_f32_f16_e32 v18, v12, v4
	v_dot2c_f32_f16_e32 v17, v12, v5
	;; [unrolled: 1-line block ×16, first 2 shown]
	ds_read_b128 v[4:7], v83 offset:25088
	v_dot2c_f32_f16_e32 v22, v12, v8
	v_dot2c_f32_f16_e32 v21, v12, v9
	;; [unrolled: 1-line block ×16, first 2 shown]
	ds_read_b128 v[8:11], v83 offset:25344
	ds_read_b128 v[12:15], v82 offset:8960
	s_waitcnt lgkmcnt(2)
	v_dot2c_f32_f16_e32 v50, v0, v4
	v_dot2c_f32_f16_e32 v49, v0, v5
	;; [unrolled: 1-line block ×16, first 2 shown]
	s_waitcnt lgkmcnt(1)
	v_dot2c_f32_f16_e32 v79, v0, v8
	v_dot2c_f32_f16_e32 v77, v0, v9
	;; [unrolled: 1-line block ×16, first 2 shown]
	ds_read_b128 v[0:3], v82 offset:9216
	s_waitcnt lgkmcnt(1)
	v_dot2c_f32_f16_e32 v18, v12, v4
	v_dot2c_f32_f16_e32 v17, v12, v5
	;; [unrolled: 1-line block ×16, first 2 shown]
	ds_read_b128 v[4:7], v83 offset:25600
	v_dot2c_f32_f16_e32 v22, v12, v8
	v_dot2c_f32_f16_e32 v21, v12, v9
	;; [unrolled: 1-line block ×16, first 2 shown]
	ds_read_b128 v[8:11], v83 offset:25856
	ds_read_b128 v[12:15], v82 offset:9472
	s_waitcnt lgkmcnt(2)
	v_dot2c_f32_f16_e32 v50, v0, v4
	v_dot2c_f32_f16_e32 v49, v0, v5
	;; [unrolled: 1-line block ×16, first 2 shown]
	s_waitcnt lgkmcnt(1)
	v_dot2c_f32_f16_e32 v79, v0, v8
	v_dot2c_f32_f16_e32 v77, v0, v9
	v_dot2c_f32_f16_e32 v80, v0, v10
	v_dot2c_f32_f16_e32 v81, v0, v11
	v_dot2c_f32_f16_e32 v75, v1, v8
	v_dot2c_f32_f16_e32 v74, v1, v9
	v_dot2c_f32_f16_e32 v76, v1, v10
	v_dot2c_f32_f16_e32 v78, v1, v11
	v_dot2c_f32_f16_e32 v62, v2, v8
	v_dot2c_f32_f16_e32 v58, v2, v9
	v_dot2c_f32_f16_e32 v65, v2, v10
	v_dot2c_f32_f16_e32 v67, v2, v11
	v_dot2c_f32_f16_e32 v54, v3, v8
	v_dot2c_f32_f16_e32 v53, v3, v9
	v_dot2c_f32_f16_e32 v56, v3, v10
	v_dot2c_f32_f16_e32 v59, v3, v11
	ds_read_b128 v[0:3], v82 offset:9728
	s_waitcnt lgkmcnt(1)
	v_dot2c_f32_f16_e32 v18, v12, v4
	v_dot2c_f32_f16_e32 v17, v12, v5
	;; [unrolled: 1-line block ×16, first 2 shown]
	ds_read_b128 v[4:7], v83 offset:26112
	v_dot2c_f32_f16_e32 v22, v12, v8
	v_dot2c_f32_f16_e32 v21, v12, v9
	;; [unrolled: 1-line block ×16, first 2 shown]
	ds_read_b128 v[8:11], v83 offset:26368
	ds_read_b128 v[12:15], v82 offset:9984
	s_waitcnt lgkmcnt(2)
	v_dot2c_f32_f16_e32 v50, v0, v4
	v_dot2c_f32_f16_e32 v49, v0, v5
	;; [unrolled: 1-line block ×16, first 2 shown]
	s_waitcnt lgkmcnt(1)
	v_dot2c_f32_f16_e32 v79, v0, v8
	v_dot2c_f32_f16_e32 v77, v0, v9
	;; [unrolled: 1-line block ×16, first 2 shown]
	ds_read_b128 v[0:3], v82 offset:10240
	s_waitcnt lgkmcnt(1)
	v_dot2c_f32_f16_e32 v18, v12, v4
	v_dot2c_f32_f16_e32 v17, v12, v5
	;; [unrolled: 1-line block ×16, first 2 shown]
	ds_read_b128 v[4:7], v83 offset:26624
	v_dot2c_f32_f16_e32 v22, v12, v8
	v_dot2c_f32_f16_e32 v21, v12, v9
	;; [unrolled: 1-line block ×16, first 2 shown]
	ds_read_b128 v[8:11], v83 offset:26880
	ds_read_b128 v[12:15], v82 offset:10496
	s_waitcnt lgkmcnt(2)
	v_dot2c_f32_f16_e32 v50, v0, v4
	v_dot2c_f32_f16_e32 v49, v0, v5
	v_dot2c_f32_f16_e32 v51, v0, v6
	v_dot2c_f32_f16_e32 v52, v0, v7
	v_dot2c_f32_f16_e32 v33, v1, v4
	v_dot2c_f32_f16_e32 v31, v1, v5
	v_dot2c_f32_f16_e32 v36, v1, v6
	v_dot2c_f32_f16_e32 v38, v1, v7
	v_dot2c_f32_f16_e32 v30, v2, v4
	v_dot2c_f32_f16_e32 v29, v2, v5
	v_dot2c_f32_f16_e32 v47, v2, v6
	v_dot2c_f32_f16_e32 v48, v2, v7
	v_dot2c_f32_f16_e32 v39, v3, v4
	v_dot2c_f32_f16_e32 v34, v3, v5
	v_dot2c_f32_f16_e32 v43, v3, v6
	v_dot2c_f32_f16_e32 v44, v3, v7
	s_waitcnt lgkmcnt(1)
	v_dot2c_f32_f16_e32 v79, v0, v8
	v_dot2c_f32_f16_e32 v77, v0, v9
	;; [unrolled: 1-line block ×16, first 2 shown]
	ds_read_b128 v[0:3], v82 offset:10752
	s_waitcnt lgkmcnt(1)
	v_dot2c_f32_f16_e32 v18, v12, v4
	v_dot2c_f32_f16_e32 v17, v12, v5
	;; [unrolled: 1-line block ×16, first 2 shown]
	ds_read_b128 v[4:7], v83 offset:27136
	v_dot2c_f32_f16_e32 v22, v12, v8
	v_dot2c_f32_f16_e32 v21, v12, v9
	;; [unrolled: 1-line block ×16, first 2 shown]
	ds_read_b128 v[8:11], v83 offset:27392
	ds_read_b128 v[12:15], v82 offset:11008
	s_waitcnt lgkmcnt(2)
	v_dot2c_f32_f16_e32 v50, v0, v4
	v_dot2c_f32_f16_e32 v49, v0, v5
	;; [unrolled: 1-line block ×16, first 2 shown]
	s_waitcnt lgkmcnt(1)
	v_dot2c_f32_f16_e32 v79, v0, v8
	v_dot2c_f32_f16_e32 v77, v0, v9
	;; [unrolled: 1-line block ×16, first 2 shown]
	ds_read_b128 v[0:3], v82 offset:11264
	s_waitcnt lgkmcnt(1)
	v_dot2c_f32_f16_e32 v18, v12, v4
	v_dot2c_f32_f16_e32 v17, v12, v5
	;; [unrolled: 1-line block ×16, first 2 shown]
	ds_read_b128 v[4:7], v83 offset:27648
	v_dot2c_f32_f16_e32 v22, v12, v8
	v_dot2c_f32_f16_e32 v21, v12, v9
	;; [unrolled: 1-line block ×16, first 2 shown]
	ds_read_b128 v[8:11], v83 offset:27904
	ds_read_b128 v[12:15], v82 offset:11520
	s_waitcnt lgkmcnt(2)
	v_dot2c_f32_f16_e32 v50, v0, v4
	v_dot2c_f32_f16_e32 v49, v0, v5
	;; [unrolled: 1-line block ×16, first 2 shown]
	s_waitcnt lgkmcnt(1)
	v_dot2c_f32_f16_e32 v79, v0, v8
	v_dot2c_f32_f16_e32 v77, v0, v9
	;; [unrolled: 1-line block ×16, first 2 shown]
	ds_read_b128 v[0:3], v82 offset:11776
	s_waitcnt lgkmcnt(1)
	v_dot2c_f32_f16_e32 v18, v12, v4
	v_dot2c_f32_f16_e32 v17, v12, v5
	;; [unrolled: 1-line block ×16, first 2 shown]
	ds_read_b128 v[4:7], v83 offset:28160
	v_dot2c_f32_f16_e32 v22, v12, v8
	v_dot2c_f32_f16_e32 v21, v12, v9
	;; [unrolled: 1-line block ×16, first 2 shown]
	ds_read_b128 v[8:11], v83 offset:28416
	ds_read_b128 v[12:15], v82 offset:12032
	s_waitcnt lgkmcnt(2)
	v_dot2c_f32_f16_e32 v50, v0, v4
	v_dot2c_f32_f16_e32 v49, v0, v5
	;; [unrolled: 1-line block ×16, first 2 shown]
	s_waitcnt lgkmcnt(1)
	v_dot2c_f32_f16_e32 v79, v0, v8
	v_dot2c_f32_f16_e32 v77, v0, v9
	;; [unrolled: 1-line block ×16, first 2 shown]
	ds_read_b128 v[0:3], v82 offset:12288
	s_waitcnt lgkmcnt(1)
	v_dot2c_f32_f16_e32 v18, v12, v4
	v_dot2c_f32_f16_e32 v17, v12, v5
	;; [unrolled: 1-line block ×16, first 2 shown]
	ds_read_b128 v[4:7], v83 offset:28672
	v_dot2c_f32_f16_e32 v22, v12, v8
	v_dot2c_f32_f16_e32 v21, v12, v9
	;; [unrolled: 1-line block ×16, first 2 shown]
	ds_read_b128 v[8:11], v83 offset:28928
	ds_read_b128 v[12:15], v82 offset:12544
	s_waitcnt lgkmcnt(2)
	v_dot2c_f32_f16_e32 v50, v0, v4
	v_dot2c_f32_f16_e32 v49, v0, v5
	v_dot2c_f32_f16_e32 v51, v0, v6
	v_dot2c_f32_f16_e32 v52, v0, v7
	v_dot2c_f32_f16_e32 v33, v1, v4
	v_dot2c_f32_f16_e32 v31, v1, v5
	v_dot2c_f32_f16_e32 v36, v1, v6
	v_dot2c_f32_f16_e32 v38, v1, v7
	v_dot2c_f32_f16_e32 v30, v2, v4
	v_dot2c_f32_f16_e32 v29, v2, v5
	v_dot2c_f32_f16_e32 v47, v2, v6
	v_dot2c_f32_f16_e32 v48, v2, v7
	v_dot2c_f32_f16_e32 v39, v3, v4
	v_dot2c_f32_f16_e32 v34, v3, v5
	v_dot2c_f32_f16_e32 v43, v3, v6
	v_dot2c_f32_f16_e32 v44, v3, v7
	s_waitcnt lgkmcnt(1)
	v_dot2c_f32_f16_e32 v79, v0, v8
	v_dot2c_f32_f16_e32 v77, v0, v9
	;; [unrolled: 1-line block ×16, first 2 shown]
	ds_read_b128 v[0:3], v82 offset:12800
	s_waitcnt lgkmcnt(1)
	v_dot2c_f32_f16_e32 v18, v12, v4
	v_dot2c_f32_f16_e32 v17, v12, v5
	;; [unrolled: 1-line block ×16, first 2 shown]
	ds_read_b128 v[4:7], v83 offset:29184
	v_dot2c_f32_f16_e32 v22, v12, v8
	v_dot2c_f32_f16_e32 v21, v12, v9
	;; [unrolled: 1-line block ×16, first 2 shown]
	ds_read_b128 v[8:11], v83 offset:29440
	ds_read_b128 v[12:15], v82 offset:13056
	s_waitcnt lgkmcnt(2)
	v_dot2c_f32_f16_e32 v50, v0, v4
	v_dot2c_f32_f16_e32 v49, v0, v5
	;; [unrolled: 1-line block ×16, first 2 shown]
	s_waitcnt lgkmcnt(1)
	v_dot2c_f32_f16_e32 v79, v0, v8
	v_dot2c_f32_f16_e32 v77, v0, v9
	;; [unrolled: 1-line block ×16, first 2 shown]
	ds_read_b128 v[0:3], v82 offset:13312
	s_waitcnt lgkmcnt(1)
	v_dot2c_f32_f16_e32 v18, v12, v4
	v_dot2c_f32_f16_e32 v17, v12, v5
	;; [unrolled: 1-line block ×16, first 2 shown]
	ds_read_b128 v[4:7], v83 offset:29696
	v_dot2c_f32_f16_e32 v22, v12, v8
	v_dot2c_f32_f16_e32 v21, v12, v9
	;; [unrolled: 1-line block ×16, first 2 shown]
	ds_read_b128 v[8:11], v83 offset:29952
	ds_read_b128 v[12:15], v82 offset:13568
	s_waitcnt lgkmcnt(2)
	v_dot2c_f32_f16_e32 v50, v0, v4
	v_dot2c_f32_f16_e32 v49, v0, v5
	;; [unrolled: 1-line block ×16, first 2 shown]
	s_waitcnt lgkmcnt(1)
	v_dot2c_f32_f16_e32 v79, v0, v8
	v_dot2c_f32_f16_e32 v77, v0, v9
	;; [unrolled: 1-line block ×16, first 2 shown]
	ds_read_b128 v[0:3], v82 offset:13824
	s_waitcnt lgkmcnt(1)
	v_dot2c_f32_f16_e32 v18, v12, v4
	v_dot2c_f32_f16_e32 v17, v12, v5
	;; [unrolled: 1-line block ×16, first 2 shown]
	ds_read_b128 v[4:7], v83 offset:30208
	v_dot2c_f32_f16_e32 v22, v12, v8
	v_dot2c_f32_f16_e32 v21, v12, v9
	v_dot2c_f32_f16_e32 v24, v12, v10
	v_dot2c_f32_f16_e32 v26, v12, v11
	v_dot2c_f32_f16_e32 v35, v13, v8
	v_dot2c_f32_f16_e32 v32, v13, v9
	v_dot2c_f32_f16_e32 v40, v13, v10
	v_dot2c_f32_f16_e32 v42, v13, v11
	v_dot2c_f32_f16_e32 v57, v14, v8
	v_dot2c_f32_f16_e32 v55, v14, v9
	v_dot2c_f32_f16_e32 v61, v14, v10
	v_dot2c_f32_f16_e32 v64, v14, v11
	v_dot2c_f32_f16_e32 v72, v15, v8
	v_dot2c_f32_f16_e32 v71, v15, v9
	v_dot2c_f32_f16_e32 v73, v15, v10
	v_dot2c_f32_f16_e32 v16, v15, v11
	ds_read_b128 v[8:11], v83 offset:30464
	ds_read_b128 v[12:15], v82 offset:14080
	s_waitcnt lgkmcnt(2)
	v_dot2c_f32_f16_e32 v50, v0, v4
	v_dot2c_f32_f16_e32 v49, v0, v5
	v_dot2c_f32_f16_e32 v51, v0, v6
	v_dot2c_f32_f16_e32 v52, v0, v7
	v_dot2c_f32_f16_e32 v33, v1, v4
	v_dot2c_f32_f16_e32 v31, v1, v5
	v_dot2c_f32_f16_e32 v36, v1, v6
	v_dot2c_f32_f16_e32 v38, v1, v7
	v_dot2c_f32_f16_e32 v30, v2, v4
	v_dot2c_f32_f16_e32 v29, v2, v5
	v_dot2c_f32_f16_e32 v47, v2, v6
	v_dot2c_f32_f16_e32 v48, v2, v7
	v_dot2c_f32_f16_e32 v39, v3, v4
	v_dot2c_f32_f16_e32 v34, v3, v5
	v_dot2c_f32_f16_e32 v43, v3, v6
	v_dot2c_f32_f16_e32 v44, v3, v7
	s_waitcnt lgkmcnt(1)
	v_dot2c_f32_f16_e32 v79, v0, v8
	v_dot2c_f32_f16_e32 v77, v0, v9
	;; [unrolled: 1-line block ×16, first 2 shown]
	ds_read_b128 v[0:3], v82 offset:14336
	s_waitcnt lgkmcnt(1)
	v_dot2c_f32_f16_e32 v18, v12, v4
	v_dot2c_f32_f16_e32 v17, v12, v5
	;; [unrolled: 1-line block ×16, first 2 shown]
	ds_read_b128 v[4:7], v83 offset:30720
	v_dot2c_f32_f16_e32 v22, v12, v8
	v_dot2c_f32_f16_e32 v21, v12, v9
	;; [unrolled: 1-line block ×16, first 2 shown]
	ds_read_b128 v[8:11], v83 offset:30976
	ds_read_b128 v[12:15], v82 offset:14592
	s_waitcnt lgkmcnt(2)
	v_dot2c_f32_f16_e32 v50, v0, v4
	v_dot2c_f32_f16_e32 v49, v0, v5
	;; [unrolled: 1-line block ×16, first 2 shown]
	s_waitcnt lgkmcnt(1)
	v_dot2c_f32_f16_e32 v79, v0, v8
	v_dot2c_f32_f16_e32 v77, v0, v9
	v_dot2c_f32_f16_e32 v80, v0, v10
	v_dot2c_f32_f16_e32 v81, v0, v11
	v_dot2c_f32_f16_e32 v75, v1, v8
	v_dot2c_f32_f16_e32 v74, v1, v9
	v_dot2c_f32_f16_e32 v76, v1, v10
	v_dot2c_f32_f16_e32 v78, v1, v11
	v_dot2c_f32_f16_e32 v62, v2, v8
	v_dot2c_f32_f16_e32 v58, v2, v9
	v_dot2c_f32_f16_e32 v65, v2, v10
	v_dot2c_f32_f16_e32 v67, v2, v11
	v_dot2c_f32_f16_e32 v54, v3, v8
	v_dot2c_f32_f16_e32 v53, v3, v9
	v_dot2c_f32_f16_e32 v56, v3, v10
	v_dot2c_f32_f16_e32 v59, v3, v11
	ds_read_b128 v[0:3], v82 offset:14848
	s_waitcnt lgkmcnt(1)
	v_dot2c_f32_f16_e32 v18, v12, v4
	v_dot2c_f32_f16_e32 v17, v12, v5
	;; [unrolled: 1-line block ×16, first 2 shown]
	ds_read_b128 v[4:7], v83 offset:31232
	v_dot2c_f32_f16_e32 v22, v12, v8
	v_dot2c_f32_f16_e32 v21, v12, v9
	v_dot2c_f32_f16_e32 v24, v12, v10
	v_dot2c_f32_f16_e32 v26, v12, v11
	v_dot2c_f32_f16_e32 v35, v13, v8
	v_dot2c_f32_f16_e32 v32, v13, v9
	v_dot2c_f32_f16_e32 v40, v13, v10
	v_dot2c_f32_f16_e32 v42, v13, v11
	v_dot2c_f32_f16_e32 v57, v14, v8
	v_dot2c_f32_f16_e32 v55, v14, v9
	v_dot2c_f32_f16_e32 v61, v14, v10
	v_dot2c_f32_f16_e32 v64, v14, v11
	v_dot2c_f32_f16_e32 v72, v15, v8
	v_dot2c_f32_f16_e32 v71, v15, v9
	v_dot2c_f32_f16_e32 v73, v15, v10
	v_dot2c_f32_f16_e32 v16, v15, v11
	ds_read_b128 v[8:11], v83 offset:31488
	ds_read_b128 v[12:15], v82 offset:15104
	s_waitcnt lgkmcnt(2)
	v_dot2c_f32_f16_e32 v50, v0, v4
	v_dot2c_f32_f16_e32 v49, v0, v5
	;; [unrolled: 1-line block ×16, first 2 shown]
	s_waitcnt lgkmcnt(1)
	v_dot2c_f32_f16_e32 v79, v0, v8
	v_dot2c_f32_f16_e32 v77, v0, v9
	;; [unrolled: 1-line block ×16, first 2 shown]
	ds_read_b128 v[0:3], v82 offset:15360
	s_waitcnt lgkmcnt(1)
	v_dot2c_f32_f16_e32 v18, v12, v4
	v_dot2c_f32_f16_e32 v17, v12, v5
	;; [unrolled: 1-line block ×16, first 2 shown]
	ds_read_b128 v[4:7], v83 offset:31744
	v_dot2c_f32_f16_e32 v22, v12, v8
	v_dot2c_f32_f16_e32 v21, v12, v9
	;; [unrolled: 1-line block ×16, first 2 shown]
	ds_read_b128 v[8:11], v83 offset:32000
	ds_read_b128 v[12:15], v82 offset:15616
	s_waitcnt lgkmcnt(2)
	v_dot2c_f32_f16_e32 v50, v0, v4
	v_dot2c_f32_f16_e32 v49, v0, v5
	;; [unrolled: 1-line block ×16, first 2 shown]
	s_waitcnt lgkmcnt(1)
	v_dot2c_f32_f16_e32 v79, v0, v8
	v_dot2c_f32_f16_e32 v77, v0, v9
	;; [unrolled: 1-line block ×16, first 2 shown]
	ds_read_b128 v[0:3], v82 offset:15872
	s_waitcnt lgkmcnt(1)
	v_dot2c_f32_f16_e32 v18, v12, v4
	v_dot2c_f32_f16_e32 v17, v12, v5
	;; [unrolled: 1-line block ×16, first 2 shown]
	ds_read_b128 v[4:7], v83 offset:32256
	v_dot2c_f32_f16_e32 v22, v12, v8
	v_dot2c_f32_f16_e32 v21, v12, v9
	;; [unrolled: 1-line block ×16, first 2 shown]
	ds_read_b128 v[8:11], v83 offset:32512
	ds_read_b128 v[12:15], v82 offset:16128
	s_waitcnt lgkmcnt(2)
	v_dot2c_f32_f16_e32 v50, v0, v4
	v_dot2c_f32_f16_e32 v49, v0, v5
	;; [unrolled: 1-line block ×16, first 2 shown]
	s_waitcnt lgkmcnt(1)
	v_dot2c_f32_f16_e32 v75, v1, v8
	v_dot2c_f32_f16_e32 v74, v1, v9
	;; [unrolled: 1-line block ×12, first 2 shown]
	s_waitcnt lgkmcnt(0)
	v_dot2c_f32_f16_e32 v18, v12, v4
	v_dot2c_f32_f16_e32 v25, v13, v4
	;; [unrolled: 1-line block ×4, first 2 shown]
	v_cvt_f16_f32_e32 v2, v50
	v_cvt_f16_f32_e32 v1, v51
	;; [unrolled: 1-line block ×4, first 2 shown]
	v_dot2c_f32_f16_e32 v79, v0, v8
	v_dot2c_f32_f16_e32 v77, v0, v9
	;; [unrolled: 1-line block ×4, first 2 shown]
	v_add_u32_e32 v0, s17, v70
	v_mul_lo_u32 v0, v0, s16
	v_dot2c_f32_f16_e32 v17, v12, v5
	v_dot2c_f32_f16_e32 v19, v12, v6
	;; [unrolled: 1-line block ×12, first 2 shown]
	v_add3_u32 v5, s3, v69, v0
	v_pack_b32_f16 v1, v1, v3
	v_pack_b32_f16 v0, v2, v4
	v_cvt_f16_f32_e32 v3, v79
	v_cvt_f16_f32_e32 v4, v80
	;; [unrolled: 1-line block ×4, first 2 shown]
	s_mov_b32 s3, s7
	v_lshlrev_b32_e32 v2, 1, v5
	buffer_store_dwordx2 v[0:1], v2, s[0:3], 0 offen
	v_pack_b32_f16 v1, v4, v6
	v_pack_b32_f16 v0, v3, v7
	v_cvt_f16_f32_e32 v3, v75
	v_cvt_f16_f32_e32 v4, v76
	;; [unrolled: 1-line block ×4, first 2 shown]
	v_add_u32_e32 v2, 64, v5
	v_dot2c_f32_f16_e32 v22, v12, v8
	v_dot2c_f32_f16_e32 v35, v13, v8
	v_dot2c_f32_f16_e32 v57, v14, v8
	v_dot2c_f32_f16_e32 v72, v15, v8
	v_lshlrev_b32_e32 v8, 1, v2
	buffer_store_dwordx2 v[0:1], v8, s[0:3], 0 offen
	v_pack_b32_f16 v1, v4, v6
	v_pack_b32_f16 v0, v3, v7
	v_cvt_f16_f32_e32 v3, v33
	v_cvt_f16_f32_e32 v4, v36
	;; [unrolled: 1-line block ×4, first 2 shown]
	v_add_lshl_u32 v2, v2, s16, 1
	buffer_store_dwordx2 v[0:1], v2, s[0:3], 0 offen
	v_add_u32_e32 v2, s16, v5
	v_pack_b32_f16 v1, v4, v6
	v_pack_b32_f16 v0, v3, v7
	v_cvt_f16_f32_e32 v4, v30
	v_cvt_f16_f32_e32 v5, v47
	;; [unrolled: 1-line block ×4, first 2 shown]
	v_lshlrev_b32_e32 v3, 1, v2
	buffer_store_dwordx2 v[0:1], v3, s[0:3], 0 offen
	v_pack_b32_f16 v1, v5, v6
	v_pack_b32_f16 v0, v4, v7
	v_cvt_f16_f32_e32 v4, v62
	v_cvt_f16_f32_e32 v5, v65
	;; [unrolled: 1-line block ×4, first 2 shown]
	v_add_u32_e32 v2, s16, v2
	v_lshlrev_b32_e32 v3, 1, v2
	buffer_store_dwordx2 v[0:1], v3, s[0:3], 0 offen
	v_pack_b32_f16 v1, v5, v6
	v_pack_b32_f16 v0, v4, v7
	v_cvt_f16_f32_e32 v4, v54
	v_cvt_f16_f32_e32 v5, v56
	;; [unrolled: 1-line block ×4, first 2 shown]
	v_add_u32_e32 v3, 64, v2
	v_lshlrev_b32_e32 v8, 1, v3
	buffer_store_dwordx2 v[0:1], v8, s[0:3], 0 offen
	v_pack_b32_f16 v1, v5, v6
	v_pack_b32_f16 v0, v4, v7
	v_cvt_f16_f32_e32 v4, v39
	v_cvt_f16_f32_e32 v5, v43
	;; [unrolled: 1-line block ×4, first 2 shown]
	v_add_lshl_u32 v3, v3, s16, 1
	buffer_store_dwordx2 v[0:1], v3, s[0:3], 0 offen
	v_pack_b32_f16 v1, v5, v6
	v_pack_b32_f16 v0, v4, v7
	v_cvt_f16_f32_e32 v4, v63
	v_cvt_f16_f32_e32 v5, v66
	v_cvt_f16_f32_e32 v6, v68
	v_cvt_f16_f32_e32 v7, v60
	v_add_u32_e32 v2, s16, v2
	v_dot2c_f32_f16_e32 v71, v15, v9
	v_dot2c_f32_f16_e32 v73, v15, v10
	;; [unrolled: 1-line block ×3, first 2 shown]
	v_lshlrev_b32_e32 v3, 1, v2
	buffer_store_dwordx2 v[0:1], v3, s[0:3], 0 offen
	v_pack_b32_f16 v1, v5, v6
	v_pack_b32_f16 v0, v4, v7
	v_cvt_f16_f32_e32 v4, v72
	v_cvt_f16_f32_e32 v5, v73
	;; [unrolled: 1-line block ×4, first 2 shown]
	v_lshl_add_u32 v2, s16, 6, v2
	v_dot2c_f32_f16_e32 v55, v14, v9
	v_dot2c_f32_f16_e32 v61, v14, v10
	;; [unrolled: 1-line block ×3, first 2 shown]
	v_lshlrev_b32_e32 v3, 1, v2
	buffer_store_dwordx2 v[0:1], v3, s[0:3], 0 offen
	v_pack_b32_f16 v1, v5, v6
	v_pack_b32_f16 v0, v4, v7
	v_cvt_f16_f32_e32 v4, v57
	v_cvt_f16_f32_e32 v5, v61
	;; [unrolled: 1-line block ×4, first 2 shown]
	v_add_u32_e32 v2, 64, v2
	v_lshlrev_b32_e32 v3, 1, v2
	buffer_store_dwordx2 v[0:1], v3, s[0:3], 0 offen
	v_pack_b32_f16 v1, v5, v6
	v_pack_b32_f16 v0, v4, v7
	v_cvt_f16_f32_e32 v4, v41
	v_cvt_f16_f32_e32 v5, v45
	;; [unrolled: 1-line block ×4, first 2 shown]
	v_subrev_u32_e32 v2, s16, v2
	v_lshlrev_b32_e32 v3, 1, v2
	buffer_store_dwordx2 v[0:1], v3, s[0:3], 0 offen
	v_pack_b32_f16 v1, v5, v6
	v_pack_b32_f16 v0, v4, v7
	v_cvt_f16_f32_e32 v4, v25
	v_cvt_f16_f32_e32 v5, v27
	;; [unrolled: 1-line block ×4, first 2 shown]
	v_subrev_u32_e32 v2, 64, v2
	v_dot2c_f32_f16_e32 v32, v13, v9
	v_dot2c_f32_f16_e32 v40, v13, v10
	;; [unrolled: 1-line block ×3, first 2 shown]
	v_lshlrev_b32_e32 v3, 1, v2
	buffer_store_dwordx2 v[0:1], v3, s[0:3], 0 offen
	v_pack_b32_f16 v1, v5, v6
	v_pack_b32_f16 v0, v4, v7
	v_cvt_f16_f32_e32 v4, v35
	v_cvt_f16_f32_e32 v5, v40
	;; [unrolled: 1-line block ×4, first 2 shown]
	v_subrev_u32_e32 v2, s16, v2
	v_dot2c_f32_f16_e32 v21, v12, v9
	v_dot2c_f32_f16_e32 v24, v12, v10
	;; [unrolled: 1-line block ×3, first 2 shown]
	v_lshlrev_b32_e32 v3, 1, v2
	buffer_store_dwordx2 v[0:1], v3, s[0:3], 0 offen
	v_pack_b32_f16 v1, v5, v6
	v_pack_b32_f16 v0, v4, v7
	v_cvt_f16_f32_e32 v4, v22
	v_cvt_f16_f32_e32 v5, v24
	v_cvt_f16_f32_e32 v6, v26
	v_cvt_f16_f32_e32 v7, v21
	v_add_u32_e32 v2, 64, v2
	v_lshlrev_b32_e32 v3, 1, v2
	buffer_store_dwordx2 v[0:1], v3, s[0:3], 0 offen
	v_pack_b32_f16 v1, v5, v6
	v_pack_b32_f16 v0, v4, v7
	v_cvt_f16_f32_e32 v3, v18
	v_cvt_f16_f32_e32 v4, v19
	;; [unrolled: 1-line block ×4, first 2 shown]
	v_subrev_u32_e32 v2, s16, v2
	v_lshlrev_b32_e32 v2, 1, v2
	buffer_store_dwordx2 v[0:1], v2, s[0:3], 0 offen
	v_pack_b32_f16 v1, v4, v5
	v_pack_b32_f16 v0, v3, v6
	v_add_u32_e32 v2, 0xffffff80, v2
	buffer_store_dwordx2 v[0:1], v2, s[0:3], 0 offen
	s_endpgm
	.section	.rodata,"a",@progbits
	.p2align	6, 0x0
	.amdhsa_kernel _ZN2ck19kernel_gemm_dl_v1r3INS_28GridwiseGemmDl_km_kn_mn_v1r3ILi256EDF16_fDF16_LNS_25InMemoryDataOperationEnumE0ENS_16TensorDescriptorINS_5TupleIJNS_5EmbedINS4_IJiiEEENS4_IJNS_17integral_constantIiLi1EEEiEEELb0EEENS_7UnMergeINS4_IJiNS7_IiLi2EEEEEELb0EEENS_11PassThroughIiEEEEENS4_IJNS_8SequenceIJLi0EEEENSI_IJLi2EEEENSI_IJLi1EEEEEEENS4_IJNSI_IJLi1ELi2EEEENSI_IJLi3ELi4EEEENSI_IJLi5EEEEEEENSI_IJLi3ELi5ELi4EEEElEENS3_INS4_IJNS5_IS6_NS4_IJiS8_EEELb0EEESE_SG_EEENS4_IJSJ_SL_SK_EEESQ_SR_lEENS3_INS4_IJSU_SG_SG_EEESW_NS4_IJSN_NSI_IJLi3EEEENSI_IJLi4EEEEEEESO_lEELi128ELi128ELi16ELi2ELi4ELi4ELi1ENSI_IJLi8ELi2EEEES13_NSI_IJLi2ELi1ELi4ELi2EEEENSI_IJLi8ELi1ELi32ELi1EEEENSI_IJLi0ELi3ELi1ELi2EEEES16_NSI_IJLi1ELi1ELi4ELi1EEEES16_NSI_IJLi1ELi1ELi4ELi2EEEES14_S15_S16_S16_S17_S16_S18_NSI_IJLi0ELi1ELi2ELi3ELi4ELi5EEEELi5ELi4EEEDF16_DF16_NS3_INS4_IJSA_SE_SG_SG_NSB_INS4_IJiNS7_IiLi128EEEEEELb0EEENSF_ISC_EEEEENS4_IJSJ_SK_SL_SZ_SP_S10_EEENS4_IJSN_SO_SP_NSI_IJLi6EEEENSI_IJLi7ELi8EEEENSI_IJLi9EEEEEEENSI_IJLi6ELi7ELi8ELi9EEEElEENS3_INS4_IJSU_SE_SG_SG_S1D_S1E_EEENS4_IJSJ_SL_SK_SZ_SP_S10_EEES1K_S1L_lEENS3_INS4_IJSU_SG_SG_NSB_INS4_IJiSC_NS7_IiLi64EEEEEELb0EEES1S_EEENS4_IJSJ_SL_SK_SZ_S10_EEENS4_IJSN_SZ_S10_NSI_IJLi5ELi6ELi7EEEENSI_IJLi8ELi9ELi10EEEEEEENSI_IJLi5ELi6ELi7ELi8ELi9ELi10EEEElEENS_31BlockToCTileMap_M00_N00_M01_N01ILi128ELi128ES12_Lb0EEELb0ELb1EEEvPKT0_S24_PT1_T2_T3_T4_T5_
		.amdhsa_group_segment_fixed_size 32768
		.amdhsa_private_segment_fixed_size 0
		.amdhsa_kernarg_size 328
		.amdhsa_user_sgpr_count 6
		.amdhsa_user_sgpr_private_segment_buffer 1
		.amdhsa_user_sgpr_dispatch_ptr 0
		.amdhsa_user_sgpr_queue_ptr 0
		.amdhsa_user_sgpr_kernarg_segment_ptr 1
		.amdhsa_user_sgpr_dispatch_id 0
		.amdhsa_user_sgpr_flat_scratch_init 0
		.amdhsa_user_sgpr_kernarg_preload_length 0
		.amdhsa_user_sgpr_kernarg_preload_offset 0
		.amdhsa_user_sgpr_private_segment_size 0
		.amdhsa_uses_dynamic_stack 0
		.amdhsa_system_sgpr_private_segment_wavefront_offset 0
		.amdhsa_system_sgpr_workgroup_id_x 1
		.amdhsa_system_sgpr_workgroup_id_y 0
		.amdhsa_system_sgpr_workgroup_id_z 0
		.amdhsa_system_sgpr_workgroup_info 0
		.amdhsa_system_vgpr_workitem_id 0
		.amdhsa_next_free_vgpr 102
		.amdhsa_next_free_sgpr 29
		.amdhsa_accum_offset 104
		.amdhsa_reserve_vcc 0
		.amdhsa_reserve_flat_scratch 0
		.amdhsa_float_round_mode_32 0
		.amdhsa_float_round_mode_16_64 0
		.amdhsa_float_denorm_mode_32 3
		.amdhsa_float_denorm_mode_16_64 3
		.amdhsa_dx10_clamp 1
		.amdhsa_ieee_mode 1
		.amdhsa_fp16_overflow 0
		.amdhsa_tg_split 0
		.amdhsa_exception_fp_ieee_invalid_op 0
		.amdhsa_exception_fp_denorm_src 0
		.amdhsa_exception_fp_ieee_div_zero 0
		.amdhsa_exception_fp_ieee_overflow 0
		.amdhsa_exception_fp_ieee_underflow 0
		.amdhsa_exception_fp_ieee_inexact 0
		.amdhsa_exception_int_div_zero 0
	.end_amdhsa_kernel
	.section	.text._ZN2ck19kernel_gemm_dl_v1r3INS_28GridwiseGemmDl_km_kn_mn_v1r3ILi256EDF16_fDF16_LNS_25InMemoryDataOperationEnumE0ENS_16TensorDescriptorINS_5TupleIJNS_5EmbedINS4_IJiiEEENS4_IJNS_17integral_constantIiLi1EEEiEEELb0EEENS_7UnMergeINS4_IJiNS7_IiLi2EEEEEELb0EEENS_11PassThroughIiEEEEENS4_IJNS_8SequenceIJLi0EEEENSI_IJLi2EEEENSI_IJLi1EEEEEEENS4_IJNSI_IJLi1ELi2EEEENSI_IJLi3ELi4EEEENSI_IJLi5EEEEEEENSI_IJLi3ELi5ELi4EEEElEENS3_INS4_IJNS5_IS6_NS4_IJiS8_EEELb0EEESE_SG_EEENS4_IJSJ_SL_SK_EEESQ_SR_lEENS3_INS4_IJSU_SG_SG_EEESW_NS4_IJSN_NSI_IJLi3EEEENSI_IJLi4EEEEEEESO_lEELi128ELi128ELi16ELi2ELi4ELi4ELi1ENSI_IJLi8ELi2EEEES13_NSI_IJLi2ELi1ELi4ELi2EEEENSI_IJLi8ELi1ELi32ELi1EEEENSI_IJLi0ELi3ELi1ELi2EEEES16_NSI_IJLi1ELi1ELi4ELi1EEEES16_NSI_IJLi1ELi1ELi4ELi2EEEES14_S15_S16_S16_S17_S16_S18_NSI_IJLi0ELi1ELi2ELi3ELi4ELi5EEEELi5ELi4EEEDF16_DF16_NS3_INS4_IJSA_SE_SG_SG_NSB_INS4_IJiNS7_IiLi128EEEEEELb0EEENSF_ISC_EEEEENS4_IJSJ_SK_SL_SZ_SP_S10_EEENS4_IJSN_SO_SP_NSI_IJLi6EEEENSI_IJLi7ELi8EEEENSI_IJLi9EEEEEEENSI_IJLi6ELi7ELi8ELi9EEEElEENS3_INS4_IJSU_SE_SG_SG_S1D_S1E_EEENS4_IJSJ_SL_SK_SZ_SP_S10_EEES1K_S1L_lEENS3_INS4_IJSU_SG_SG_NSB_INS4_IJiSC_NS7_IiLi64EEEEEELb0EEES1S_EEENS4_IJSJ_SL_SK_SZ_S10_EEENS4_IJSN_SZ_S10_NSI_IJLi5ELi6ELi7EEEENSI_IJLi8ELi9ELi10EEEEEEENSI_IJLi5ELi6ELi7ELi8ELi9ELi10EEEElEENS_31BlockToCTileMap_M00_N00_M01_N01ILi128ELi128ES12_Lb0EEELb0ELb1EEEvPKT0_S24_PT1_T2_T3_T4_T5_,"axG",@progbits,_ZN2ck19kernel_gemm_dl_v1r3INS_28GridwiseGemmDl_km_kn_mn_v1r3ILi256EDF16_fDF16_LNS_25InMemoryDataOperationEnumE0ENS_16TensorDescriptorINS_5TupleIJNS_5EmbedINS4_IJiiEEENS4_IJNS_17integral_constantIiLi1EEEiEEELb0EEENS_7UnMergeINS4_IJiNS7_IiLi2EEEEEELb0EEENS_11PassThroughIiEEEEENS4_IJNS_8SequenceIJLi0EEEENSI_IJLi2EEEENSI_IJLi1EEEEEEENS4_IJNSI_IJLi1ELi2EEEENSI_IJLi3ELi4EEEENSI_IJLi5EEEEEEENSI_IJLi3ELi5ELi4EEEElEENS3_INS4_IJNS5_IS6_NS4_IJiS8_EEELb0EEESE_SG_EEENS4_IJSJ_SL_SK_EEESQ_SR_lEENS3_INS4_IJSU_SG_SG_EEESW_NS4_IJSN_NSI_IJLi3EEEENSI_IJLi4EEEEEEESO_lEELi128ELi128ELi16ELi2ELi4ELi4ELi1ENSI_IJLi8ELi2EEEES13_NSI_IJLi2ELi1ELi4ELi2EEEENSI_IJLi8ELi1ELi32ELi1EEEENSI_IJLi0ELi3ELi1ELi2EEEES16_NSI_IJLi1ELi1ELi4ELi1EEEES16_NSI_IJLi1ELi1ELi4ELi2EEEES14_S15_S16_S16_S17_S16_S18_NSI_IJLi0ELi1ELi2ELi3ELi4ELi5EEEELi5ELi4EEEDF16_DF16_NS3_INS4_IJSA_SE_SG_SG_NSB_INS4_IJiNS7_IiLi128EEEEEELb0EEENSF_ISC_EEEEENS4_IJSJ_SK_SL_SZ_SP_S10_EEENS4_IJSN_SO_SP_NSI_IJLi6EEEENSI_IJLi7ELi8EEEENSI_IJLi9EEEEEEENSI_IJLi6ELi7ELi8ELi9EEEElEENS3_INS4_IJSU_SE_SG_SG_S1D_S1E_EEENS4_IJSJ_SL_SK_SZ_SP_S10_EEES1K_S1L_lEENS3_INS4_IJSU_SG_SG_NSB_INS4_IJiSC_NS7_IiLi64EEEEEELb0EEES1S_EEENS4_IJSJ_SL_SK_SZ_S10_EEENS4_IJSN_SZ_S10_NSI_IJLi5ELi6ELi7EEEENSI_IJLi8ELi9ELi10EEEEEEENSI_IJLi5ELi6ELi7ELi8ELi9ELi10EEEElEENS_31BlockToCTileMap_M00_N00_M01_N01ILi128ELi128ES12_Lb0EEELb0ELb1EEEvPKT0_S24_PT1_T2_T3_T4_T5_,comdat
.Lfunc_end3:
	.size	_ZN2ck19kernel_gemm_dl_v1r3INS_28GridwiseGemmDl_km_kn_mn_v1r3ILi256EDF16_fDF16_LNS_25InMemoryDataOperationEnumE0ENS_16TensorDescriptorINS_5TupleIJNS_5EmbedINS4_IJiiEEENS4_IJNS_17integral_constantIiLi1EEEiEEELb0EEENS_7UnMergeINS4_IJiNS7_IiLi2EEEEEELb0EEENS_11PassThroughIiEEEEENS4_IJNS_8SequenceIJLi0EEEENSI_IJLi2EEEENSI_IJLi1EEEEEEENS4_IJNSI_IJLi1ELi2EEEENSI_IJLi3ELi4EEEENSI_IJLi5EEEEEEENSI_IJLi3ELi5ELi4EEEElEENS3_INS4_IJNS5_IS6_NS4_IJiS8_EEELb0EEESE_SG_EEENS4_IJSJ_SL_SK_EEESQ_SR_lEENS3_INS4_IJSU_SG_SG_EEESW_NS4_IJSN_NSI_IJLi3EEEENSI_IJLi4EEEEEEESO_lEELi128ELi128ELi16ELi2ELi4ELi4ELi1ENSI_IJLi8ELi2EEEES13_NSI_IJLi2ELi1ELi4ELi2EEEENSI_IJLi8ELi1ELi32ELi1EEEENSI_IJLi0ELi3ELi1ELi2EEEES16_NSI_IJLi1ELi1ELi4ELi1EEEES16_NSI_IJLi1ELi1ELi4ELi2EEEES14_S15_S16_S16_S17_S16_S18_NSI_IJLi0ELi1ELi2ELi3ELi4ELi5EEEELi5ELi4EEEDF16_DF16_NS3_INS4_IJSA_SE_SG_SG_NSB_INS4_IJiNS7_IiLi128EEEEEELb0EEENSF_ISC_EEEEENS4_IJSJ_SK_SL_SZ_SP_S10_EEENS4_IJSN_SO_SP_NSI_IJLi6EEEENSI_IJLi7ELi8EEEENSI_IJLi9EEEEEEENSI_IJLi6ELi7ELi8ELi9EEEElEENS3_INS4_IJSU_SE_SG_SG_S1D_S1E_EEENS4_IJSJ_SL_SK_SZ_SP_S10_EEES1K_S1L_lEENS3_INS4_IJSU_SG_SG_NSB_INS4_IJiSC_NS7_IiLi64EEEEEELb0EEES1S_EEENS4_IJSJ_SL_SK_SZ_S10_EEENS4_IJSN_SZ_S10_NSI_IJLi5ELi6ELi7EEEENSI_IJLi8ELi9ELi10EEEEEEENSI_IJLi5ELi6ELi7ELi8ELi9ELi10EEEElEENS_31BlockToCTileMap_M00_N00_M01_N01ILi128ELi128ES12_Lb0EEELb0ELb1EEEvPKT0_S24_PT1_T2_T3_T4_T5_, .Lfunc_end3-_ZN2ck19kernel_gemm_dl_v1r3INS_28GridwiseGemmDl_km_kn_mn_v1r3ILi256EDF16_fDF16_LNS_25InMemoryDataOperationEnumE0ENS_16TensorDescriptorINS_5TupleIJNS_5EmbedINS4_IJiiEEENS4_IJNS_17integral_constantIiLi1EEEiEEELb0EEENS_7UnMergeINS4_IJiNS7_IiLi2EEEEEELb0EEENS_11PassThroughIiEEEEENS4_IJNS_8SequenceIJLi0EEEENSI_IJLi2EEEENSI_IJLi1EEEEEEENS4_IJNSI_IJLi1ELi2EEEENSI_IJLi3ELi4EEEENSI_IJLi5EEEEEEENSI_IJLi3ELi5ELi4EEEElEENS3_INS4_IJNS5_IS6_NS4_IJiS8_EEELb0EEESE_SG_EEENS4_IJSJ_SL_SK_EEESQ_SR_lEENS3_INS4_IJSU_SG_SG_EEESW_NS4_IJSN_NSI_IJLi3EEEENSI_IJLi4EEEEEEESO_lEELi128ELi128ELi16ELi2ELi4ELi4ELi1ENSI_IJLi8ELi2EEEES13_NSI_IJLi2ELi1ELi4ELi2EEEENSI_IJLi8ELi1ELi32ELi1EEEENSI_IJLi0ELi3ELi1ELi2EEEES16_NSI_IJLi1ELi1ELi4ELi1EEEES16_NSI_IJLi1ELi1ELi4ELi2EEEES14_S15_S16_S16_S17_S16_S18_NSI_IJLi0ELi1ELi2ELi3ELi4ELi5EEEELi5ELi4EEEDF16_DF16_NS3_INS4_IJSA_SE_SG_SG_NSB_INS4_IJiNS7_IiLi128EEEEEELb0EEENSF_ISC_EEEEENS4_IJSJ_SK_SL_SZ_SP_S10_EEENS4_IJSN_SO_SP_NSI_IJLi6EEEENSI_IJLi7ELi8EEEENSI_IJLi9EEEEEEENSI_IJLi6ELi7ELi8ELi9EEEElEENS3_INS4_IJSU_SE_SG_SG_S1D_S1E_EEENS4_IJSJ_SL_SK_SZ_SP_S10_EEES1K_S1L_lEENS3_INS4_IJSU_SG_SG_NSB_INS4_IJiSC_NS7_IiLi64EEEEEELb0EEES1S_EEENS4_IJSJ_SL_SK_SZ_S10_EEENS4_IJSN_SZ_S10_NSI_IJLi5ELi6ELi7EEEENSI_IJLi8ELi9ELi10EEEEEEENSI_IJLi5ELi6ELi7ELi8ELi9ELi10EEEElEENS_31BlockToCTileMap_M00_N00_M01_N01ILi128ELi128ES12_Lb0EEELb0ELb1EEEvPKT0_S24_PT1_T2_T3_T4_T5_
                                        ; -- End function
	.section	.AMDGPU.csdata,"",@progbits
; Kernel info:
; codeLenInByte = 11660
; NumSgprs: 33
; NumVgprs: 102
; NumAgprs: 0
; TotalNumVgprs: 102
; ScratchSize: 0
; MemoryBound: 0
; FloatMode: 240
; IeeeMode: 1
; LDSByteSize: 32768 bytes/workgroup (compile time only)
; SGPRBlocks: 4
; VGPRBlocks: 12
; NumSGPRsForWavesPerEU: 33
; NumVGPRsForWavesPerEU: 102
; AccumOffset: 104
; Occupancy: 2
; WaveLimiterHint : 0
; COMPUTE_PGM_RSRC2:SCRATCH_EN: 0
; COMPUTE_PGM_RSRC2:USER_SGPR: 6
; COMPUTE_PGM_RSRC2:TRAP_HANDLER: 0
; COMPUTE_PGM_RSRC2:TGID_X_EN: 1
; COMPUTE_PGM_RSRC2:TGID_Y_EN: 0
; COMPUTE_PGM_RSRC2:TGID_Z_EN: 0
; COMPUTE_PGM_RSRC2:TIDIG_COMP_CNT: 0
; COMPUTE_PGM_RSRC3_GFX90A:ACCUM_OFFSET: 25
; COMPUTE_PGM_RSRC3_GFX90A:TG_SPLIT: 0
	.section	.text._ZN2ck19kernel_gemm_dl_v1r3INS_28GridwiseGemmDl_km_kn_mn_v1r3ILi256EDF16_fDF16_LNS_25InMemoryDataOperationEnumE0ENS_16TensorDescriptorINS_5TupleIJNS_5EmbedINS4_IJiiEEENS4_IJNS_17integral_constantIiLi1EEEiEEELb0EEENS_7UnMergeINS4_IJiNS7_IiLi2EEEEEELb0EEENS_11PassThroughIiEEEEENS4_IJNS_8SequenceIJLi0EEEENSI_IJLi2EEEENSI_IJLi1EEEEEEENS4_IJNSI_IJLi1ELi2EEEENSI_IJLi3ELi4EEEENSI_IJLi5EEEEEEENSI_IJLi3ELi5ELi4EEEElEENS3_INS4_IJNS5_IS6_NS4_IJiS8_EEELb0EEESE_SG_EEENS4_IJSJ_SL_SK_EEESQ_SR_lEENS3_INS4_IJSU_SG_SG_EEESW_NS4_IJSN_NSI_IJLi3EEEENSI_IJLi4EEEEEEESO_lEELi128ELi128ELi16ELi2ELi4ELi4ELi1ENSI_IJLi8ELi2EEEES13_NSI_IJLi2ELi1ELi4ELi2EEEENSI_IJLi8ELi1ELi32ELi1EEEENSI_IJLi0ELi3ELi1ELi2EEEES16_NSI_IJLi1ELi1ELi4ELi1EEEES16_NSI_IJLi1ELi1ELi4ELi2EEEES14_S15_S16_S16_S17_S16_S18_NSI_IJLi0ELi1ELi2ELi3ELi4ELi5EEEELi5ELi4EEEDF16_DF16_NS3_INS4_IJSA_SE_SG_SG_NSB_INS4_IJiNS7_IiLi128EEEEEELb0EEENSF_ISC_EEEEENS4_IJSJ_SK_SL_SZ_SP_S10_EEENS4_IJSN_SO_SP_NSI_IJLi6EEEENSI_IJLi7ELi8EEEENSI_IJLi9EEEEEEENSI_IJLi6ELi7ELi8ELi9EEEElEENS3_INS4_IJSU_SE_SG_SG_S1D_S1E_EEENS4_IJSJ_SL_SK_SZ_SP_S10_EEES1K_S1L_lEENS3_INS4_IJSU_SG_SG_NSB_INS4_IJiSC_NS7_IiLi64EEEEEELb0EEES1S_EEENS4_IJSJ_SL_SK_SZ_S10_EEENS4_IJSN_SZ_S10_NSI_IJLi5ELi6ELi7EEEENSI_IJLi8ELi9ELi10EEEEEEENSI_IJLi5ELi6ELi7ELi8ELi9ELi10EEEElEENS_31BlockToCTileMap_M00_N00_M01_N01ILi128ELi128ES12_Lb0EEELb0ELb0EEEvPKT0_S24_PT1_T2_T3_T4_T5_,"axG",@progbits,_ZN2ck19kernel_gemm_dl_v1r3INS_28GridwiseGemmDl_km_kn_mn_v1r3ILi256EDF16_fDF16_LNS_25InMemoryDataOperationEnumE0ENS_16TensorDescriptorINS_5TupleIJNS_5EmbedINS4_IJiiEEENS4_IJNS_17integral_constantIiLi1EEEiEEELb0EEENS_7UnMergeINS4_IJiNS7_IiLi2EEEEEELb0EEENS_11PassThroughIiEEEEENS4_IJNS_8SequenceIJLi0EEEENSI_IJLi2EEEENSI_IJLi1EEEEEEENS4_IJNSI_IJLi1ELi2EEEENSI_IJLi3ELi4EEEENSI_IJLi5EEEEEEENSI_IJLi3ELi5ELi4EEEElEENS3_INS4_IJNS5_IS6_NS4_IJiS8_EEELb0EEESE_SG_EEENS4_IJSJ_SL_SK_EEESQ_SR_lEENS3_INS4_IJSU_SG_SG_EEESW_NS4_IJSN_NSI_IJLi3EEEENSI_IJLi4EEEEEEESO_lEELi128ELi128ELi16ELi2ELi4ELi4ELi1ENSI_IJLi8ELi2EEEES13_NSI_IJLi2ELi1ELi4ELi2EEEENSI_IJLi8ELi1ELi32ELi1EEEENSI_IJLi0ELi3ELi1ELi2EEEES16_NSI_IJLi1ELi1ELi4ELi1EEEES16_NSI_IJLi1ELi1ELi4ELi2EEEES14_S15_S16_S16_S17_S16_S18_NSI_IJLi0ELi1ELi2ELi3ELi4ELi5EEEELi5ELi4EEEDF16_DF16_NS3_INS4_IJSA_SE_SG_SG_NSB_INS4_IJiNS7_IiLi128EEEEEELb0EEENSF_ISC_EEEEENS4_IJSJ_SK_SL_SZ_SP_S10_EEENS4_IJSN_SO_SP_NSI_IJLi6EEEENSI_IJLi7ELi8EEEENSI_IJLi9EEEEEEENSI_IJLi6ELi7ELi8ELi9EEEElEENS3_INS4_IJSU_SE_SG_SG_S1D_S1E_EEENS4_IJSJ_SL_SK_SZ_SP_S10_EEES1K_S1L_lEENS3_INS4_IJSU_SG_SG_NSB_INS4_IJiSC_NS7_IiLi64EEEEEELb0EEES1S_EEENS4_IJSJ_SL_SK_SZ_S10_EEENS4_IJSN_SZ_S10_NSI_IJLi5ELi6ELi7EEEENSI_IJLi8ELi9ELi10EEEEEEENSI_IJLi5ELi6ELi7ELi8ELi9ELi10EEEElEENS_31BlockToCTileMap_M00_N00_M01_N01ILi128ELi128ES12_Lb0EEELb0ELb0EEEvPKT0_S24_PT1_T2_T3_T4_T5_,comdat
	.protected	_ZN2ck19kernel_gemm_dl_v1r3INS_28GridwiseGemmDl_km_kn_mn_v1r3ILi256EDF16_fDF16_LNS_25InMemoryDataOperationEnumE0ENS_16TensorDescriptorINS_5TupleIJNS_5EmbedINS4_IJiiEEENS4_IJNS_17integral_constantIiLi1EEEiEEELb0EEENS_7UnMergeINS4_IJiNS7_IiLi2EEEEEELb0EEENS_11PassThroughIiEEEEENS4_IJNS_8SequenceIJLi0EEEENSI_IJLi2EEEENSI_IJLi1EEEEEEENS4_IJNSI_IJLi1ELi2EEEENSI_IJLi3ELi4EEEENSI_IJLi5EEEEEEENSI_IJLi3ELi5ELi4EEEElEENS3_INS4_IJNS5_IS6_NS4_IJiS8_EEELb0EEESE_SG_EEENS4_IJSJ_SL_SK_EEESQ_SR_lEENS3_INS4_IJSU_SG_SG_EEESW_NS4_IJSN_NSI_IJLi3EEEENSI_IJLi4EEEEEEESO_lEELi128ELi128ELi16ELi2ELi4ELi4ELi1ENSI_IJLi8ELi2EEEES13_NSI_IJLi2ELi1ELi4ELi2EEEENSI_IJLi8ELi1ELi32ELi1EEEENSI_IJLi0ELi3ELi1ELi2EEEES16_NSI_IJLi1ELi1ELi4ELi1EEEES16_NSI_IJLi1ELi1ELi4ELi2EEEES14_S15_S16_S16_S17_S16_S18_NSI_IJLi0ELi1ELi2ELi3ELi4ELi5EEEELi5ELi4EEEDF16_DF16_NS3_INS4_IJSA_SE_SG_SG_NSB_INS4_IJiNS7_IiLi128EEEEEELb0EEENSF_ISC_EEEEENS4_IJSJ_SK_SL_SZ_SP_S10_EEENS4_IJSN_SO_SP_NSI_IJLi6EEEENSI_IJLi7ELi8EEEENSI_IJLi9EEEEEEENSI_IJLi6ELi7ELi8ELi9EEEElEENS3_INS4_IJSU_SE_SG_SG_S1D_S1E_EEENS4_IJSJ_SL_SK_SZ_SP_S10_EEES1K_S1L_lEENS3_INS4_IJSU_SG_SG_NSB_INS4_IJiSC_NS7_IiLi64EEEEEELb0EEES1S_EEENS4_IJSJ_SL_SK_SZ_S10_EEENS4_IJSN_SZ_S10_NSI_IJLi5ELi6ELi7EEEENSI_IJLi8ELi9ELi10EEEEEEENSI_IJLi5ELi6ELi7ELi8ELi9ELi10EEEElEENS_31BlockToCTileMap_M00_N00_M01_N01ILi128ELi128ES12_Lb0EEELb0ELb0EEEvPKT0_S24_PT1_T2_T3_T4_T5_ ; -- Begin function _ZN2ck19kernel_gemm_dl_v1r3INS_28GridwiseGemmDl_km_kn_mn_v1r3ILi256EDF16_fDF16_LNS_25InMemoryDataOperationEnumE0ENS_16TensorDescriptorINS_5TupleIJNS_5EmbedINS4_IJiiEEENS4_IJNS_17integral_constantIiLi1EEEiEEELb0EEENS_7UnMergeINS4_IJiNS7_IiLi2EEEEEELb0EEENS_11PassThroughIiEEEEENS4_IJNS_8SequenceIJLi0EEEENSI_IJLi2EEEENSI_IJLi1EEEEEEENS4_IJNSI_IJLi1ELi2EEEENSI_IJLi3ELi4EEEENSI_IJLi5EEEEEEENSI_IJLi3ELi5ELi4EEEElEENS3_INS4_IJNS5_IS6_NS4_IJiS8_EEELb0EEESE_SG_EEENS4_IJSJ_SL_SK_EEESQ_SR_lEENS3_INS4_IJSU_SG_SG_EEESW_NS4_IJSN_NSI_IJLi3EEEENSI_IJLi4EEEEEEESO_lEELi128ELi128ELi16ELi2ELi4ELi4ELi1ENSI_IJLi8ELi2EEEES13_NSI_IJLi2ELi1ELi4ELi2EEEENSI_IJLi8ELi1ELi32ELi1EEEENSI_IJLi0ELi3ELi1ELi2EEEES16_NSI_IJLi1ELi1ELi4ELi1EEEES16_NSI_IJLi1ELi1ELi4ELi2EEEES14_S15_S16_S16_S17_S16_S18_NSI_IJLi0ELi1ELi2ELi3ELi4ELi5EEEELi5ELi4EEEDF16_DF16_NS3_INS4_IJSA_SE_SG_SG_NSB_INS4_IJiNS7_IiLi128EEEEEELb0EEENSF_ISC_EEEEENS4_IJSJ_SK_SL_SZ_SP_S10_EEENS4_IJSN_SO_SP_NSI_IJLi6EEEENSI_IJLi7ELi8EEEENSI_IJLi9EEEEEEENSI_IJLi6ELi7ELi8ELi9EEEElEENS3_INS4_IJSU_SE_SG_SG_S1D_S1E_EEENS4_IJSJ_SL_SK_SZ_SP_S10_EEES1K_S1L_lEENS3_INS4_IJSU_SG_SG_NSB_INS4_IJiSC_NS7_IiLi64EEEEEELb0EEES1S_EEENS4_IJSJ_SL_SK_SZ_S10_EEENS4_IJSN_SZ_S10_NSI_IJLi5ELi6ELi7EEEENSI_IJLi8ELi9ELi10EEEEEEENSI_IJLi5ELi6ELi7ELi8ELi9ELi10EEEElEENS_31BlockToCTileMap_M00_N00_M01_N01ILi128ELi128ES12_Lb0EEELb0ELb0EEEvPKT0_S24_PT1_T2_T3_T4_T5_
	.globl	_ZN2ck19kernel_gemm_dl_v1r3INS_28GridwiseGemmDl_km_kn_mn_v1r3ILi256EDF16_fDF16_LNS_25InMemoryDataOperationEnumE0ENS_16TensorDescriptorINS_5TupleIJNS_5EmbedINS4_IJiiEEENS4_IJNS_17integral_constantIiLi1EEEiEEELb0EEENS_7UnMergeINS4_IJiNS7_IiLi2EEEEEELb0EEENS_11PassThroughIiEEEEENS4_IJNS_8SequenceIJLi0EEEENSI_IJLi2EEEENSI_IJLi1EEEEEEENS4_IJNSI_IJLi1ELi2EEEENSI_IJLi3ELi4EEEENSI_IJLi5EEEEEEENSI_IJLi3ELi5ELi4EEEElEENS3_INS4_IJNS5_IS6_NS4_IJiS8_EEELb0EEESE_SG_EEENS4_IJSJ_SL_SK_EEESQ_SR_lEENS3_INS4_IJSU_SG_SG_EEESW_NS4_IJSN_NSI_IJLi3EEEENSI_IJLi4EEEEEEESO_lEELi128ELi128ELi16ELi2ELi4ELi4ELi1ENSI_IJLi8ELi2EEEES13_NSI_IJLi2ELi1ELi4ELi2EEEENSI_IJLi8ELi1ELi32ELi1EEEENSI_IJLi0ELi3ELi1ELi2EEEES16_NSI_IJLi1ELi1ELi4ELi1EEEES16_NSI_IJLi1ELi1ELi4ELi2EEEES14_S15_S16_S16_S17_S16_S18_NSI_IJLi0ELi1ELi2ELi3ELi4ELi5EEEELi5ELi4EEEDF16_DF16_NS3_INS4_IJSA_SE_SG_SG_NSB_INS4_IJiNS7_IiLi128EEEEEELb0EEENSF_ISC_EEEEENS4_IJSJ_SK_SL_SZ_SP_S10_EEENS4_IJSN_SO_SP_NSI_IJLi6EEEENSI_IJLi7ELi8EEEENSI_IJLi9EEEEEEENSI_IJLi6ELi7ELi8ELi9EEEElEENS3_INS4_IJSU_SE_SG_SG_S1D_S1E_EEENS4_IJSJ_SL_SK_SZ_SP_S10_EEES1K_S1L_lEENS3_INS4_IJSU_SG_SG_NSB_INS4_IJiSC_NS7_IiLi64EEEEEELb0EEES1S_EEENS4_IJSJ_SL_SK_SZ_S10_EEENS4_IJSN_SZ_S10_NSI_IJLi5ELi6ELi7EEEENSI_IJLi8ELi9ELi10EEEEEEENSI_IJLi5ELi6ELi7ELi8ELi9ELi10EEEElEENS_31BlockToCTileMap_M00_N00_M01_N01ILi128ELi128ES12_Lb0EEELb0ELb0EEEvPKT0_S24_PT1_T2_T3_T4_T5_
	.p2align	8
	.type	_ZN2ck19kernel_gemm_dl_v1r3INS_28GridwiseGemmDl_km_kn_mn_v1r3ILi256EDF16_fDF16_LNS_25InMemoryDataOperationEnumE0ENS_16TensorDescriptorINS_5TupleIJNS_5EmbedINS4_IJiiEEENS4_IJNS_17integral_constantIiLi1EEEiEEELb0EEENS_7UnMergeINS4_IJiNS7_IiLi2EEEEEELb0EEENS_11PassThroughIiEEEEENS4_IJNS_8SequenceIJLi0EEEENSI_IJLi2EEEENSI_IJLi1EEEEEEENS4_IJNSI_IJLi1ELi2EEEENSI_IJLi3ELi4EEEENSI_IJLi5EEEEEEENSI_IJLi3ELi5ELi4EEEElEENS3_INS4_IJNS5_IS6_NS4_IJiS8_EEELb0EEESE_SG_EEENS4_IJSJ_SL_SK_EEESQ_SR_lEENS3_INS4_IJSU_SG_SG_EEESW_NS4_IJSN_NSI_IJLi3EEEENSI_IJLi4EEEEEEESO_lEELi128ELi128ELi16ELi2ELi4ELi4ELi1ENSI_IJLi8ELi2EEEES13_NSI_IJLi2ELi1ELi4ELi2EEEENSI_IJLi8ELi1ELi32ELi1EEEENSI_IJLi0ELi3ELi1ELi2EEEES16_NSI_IJLi1ELi1ELi4ELi1EEEES16_NSI_IJLi1ELi1ELi4ELi2EEEES14_S15_S16_S16_S17_S16_S18_NSI_IJLi0ELi1ELi2ELi3ELi4ELi5EEEELi5ELi4EEEDF16_DF16_NS3_INS4_IJSA_SE_SG_SG_NSB_INS4_IJiNS7_IiLi128EEEEEELb0EEENSF_ISC_EEEEENS4_IJSJ_SK_SL_SZ_SP_S10_EEENS4_IJSN_SO_SP_NSI_IJLi6EEEENSI_IJLi7ELi8EEEENSI_IJLi9EEEEEEENSI_IJLi6ELi7ELi8ELi9EEEElEENS3_INS4_IJSU_SE_SG_SG_S1D_S1E_EEENS4_IJSJ_SL_SK_SZ_SP_S10_EEES1K_S1L_lEENS3_INS4_IJSU_SG_SG_NSB_INS4_IJiSC_NS7_IiLi64EEEEEELb0EEES1S_EEENS4_IJSJ_SL_SK_SZ_S10_EEENS4_IJSN_SZ_S10_NSI_IJLi5ELi6ELi7EEEENSI_IJLi8ELi9ELi10EEEEEEENSI_IJLi5ELi6ELi7ELi8ELi9ELi10EEEElEENS_31BlockToCTileMap_M00_N00_M01_N01ILi128ELi128ES12_Lb0EEELb0ELb0EEEvPKT0_S24_PT1_T2_T3_T4_T5_,@function
_ZN2ck19kernel_gemm_dl_v1r3INS_28GridwiseGemmDl_km_kn_mn_v1r3ILi256EDF16_fDF16_LNS_25InMemoryDataOperationEnumE0ENS_16TensorDescriptorINS_5TupleIJNS_5EmbedINS4_IJiiEEENS4_IJNS_17integral_constantIiLi1EEEiEEELb0EEENS_7UnMergeINS4_IJiNS7_IiLi2EEEEEELb0EEENS_11PassThroughIiEEEEENS4_IJNS_8SequenceIJLi0EEEENSI_IJLi2EEEENSI_IJLi1EEEEEEENS4_IJNSI_IJLi1ELi2EEEENSI_IJLi3ELi4EEEENSI_IJLi5EEEEEEENSI_IJLi3ELi5ELi4EEEElEENS3_INS4_IJNS5_IS6_NS4_IJiS8_EEELb0EEESE_SG_EEENS4_IJSJ_SL_SK_EEESQ_SR_lEENS3_INS4_IJSU_SG_SG_EEESW_NS4_IJSN_NSI_IJLi3EEEENSI_IJLi4EEEEEEESO_lEELi128ELi128ELi16ELi2ELi4ELi4ELi1ENSI_IJLi8ELi2EEEES13_NSI_IJLi2ELi1ELi4ELi2EEEENSI_IJLi8ELi1ELi32ELi1EEEENSI_IJLi0ELi3ELi1ELi2EEEES16_NSI_IJLi1ELi1ELi4ELi1EEEES16_NSI_IJLi1ELi1ELi4ELi2EEEES14_S15_S16_S16_S17_S16_S18_NSI_IJLi0ELi1ELi2ELi3ELi4ELi5EEEELi5ELi4EEEDF16_DF16_NS3_INS4_IJSA_SE_SG_SG_NSB_INS4_IJiNS7_IiLi128EEEEEELb0EEENSF_ISC_EEEEENS4_IJSJ_SK_SL_SZ_SP_S10_EEENS4_IJSN_SO_SP_NSI_IJLi6EEEENSI_IJLi7ELi8EEEENSI_IJLi9EEEEEEENSI_IJLi6ELi7ELi8ELi9EEEElEENS3_INS4_IJSU_SE_SG_SG_S1D_S1E_EEENS4_IJSJ_SL_SK_SZ_SP_S10_EEES1K_S1L_lEENS3_INS4_IJSU_SG_SG_NSB_INS4_IJiSC_NS7_IiLi64EEEEEELb0EEES1S_EEENS4_IJSJ_SL_SK_SZ_S10_EEENS4_IJSN_SZ_S10_NSI_IJLi5ELi6ELi7EEEENSI_IJLi8ELi9ELi10EEEEEEENSI_IJLi5ELi6ELi7ELi8ELi9ELi10EEEElEENS_31BlockToCTileMap_M00_N00_M01_N01ILi128ELi128ES12_Lb0EEELb0ELb0EEEvPKT0_S24_PT1_T2_T3_T4_T5_: ; @_ZN2ck19kernel_gemm_dl_v1r3INS_28GridwiseGemmDl_km_kn_mn_v1r3ILi256EDF16_fDF16_LNS_25InMemoryDataOperationEnumE0ENS_16TensorDescriptorINS_5TupleIJNS_5EmbedINS4_IJiiEEENS4_IJNS_17integral_constantIiLi1EEEiEEELb0EEENS_7UnMergeINS4_IJiNS7_IiLi2EEEEEELb0EEENS_11PassThroughIiEEEEENS4_IJNS_8SequenceIJLi0EEEENSI_IJLi2EEEENSI_IJLi1EEEEEEENS4_IJNSI_IJLi1ELi2EEEENSI_IJLi3ELi4EEEENSI_IJLi5EEEEEEENSI_IJLi3ELi5ELi4EEEElEENS3_INS4_IJNS5_IS6_NS4_IJiS8_EEELb0EEESE_SG_EEENS4_IJSJ_SL_SK_EEESQ_SR_lEENS3_INS4_IJSU_SG_SG_EEESW_NS4_IJSN_NSI_IJLi3EEEENSI_IJLi4EEEEEEESO_lEELi128ELi128ELi16ELi2ELi4ELi4ELi1ENSI_IJLi8ELi2EEEES13_NSI_IJLi2ELi1ELi4ELi2EEEENSI_IJLi8ELi1ELi32ELi1EEEENSI_IJLi0ELi3ELi1ELi2EEEES16_NSI_IJLi1ELi1ELi4ELi1EEEES16_NSI_IJLi1ELi1ELi4ELi2EEEES14_S15_S16_S16_S17_S16_S18_NSI_IJLi0ELi1ELi2ELi3ELi4ELi5EEEELi5ELi4EEEDF16_DF16_NS3_INS4_IJSA_SE_SG_SG_NSB_INS4_IJiNS7_IiLi128EEEEEELb0EEENSF_ISC_EEEEENS4_IJSJ_SK_SL_SZ_SP_S10_EEENS4_IJSN_SO_SP_NSI_IJLi6EEEENSI_IJLi7ELi8EEEENSI_IJLi9EEEEEEENSI_IJLi6ELi7ELi8ELi9EEEElEENS3_INS4_IJSU_SE_SG_SG_S1D_S1E_EEENS4_IJSJ_SL_SK_SZ_SP_S10_EEES1K_S1L_lEENS3_INS4_IJSU_SG_SG_NSB_INS4_IJiSC_NS7_IiLi64EEEEEELb0EEES1S_EEENS4_IJSJ_SL_SK_SZ_S10_EEENS4_IJSN_SZ_S10_NSI_IJLi5ELi6ELi7EEEENSI_IJLi8ELi9ELi10EEEEEEENSI_IJLi5ELi6ELi7ELi8ELi9ELi10EEEElEENS_31BlockToCTileMap_M00_N00_M01_N01ILi128ELi128ES12_Lb0EEELb0ELb0EEEvPKT0_S24_PT1_T2_T3_T4_T5_
; %bb.0:
	s_load_dwordx4 s[8:11], s[4:5], 0x0
	s_load_dwordx2 s[0:1], s[4:5], 0x10
	s_load_dwordx4 s[16:19], s[4:5], 0x108
	s_load_dwordx4 s[20:23], s[4:5], 0x11c
	;; [unrolled: 1-line block ×3, first 2 shown]
	s_load_dword s14, s[4:5], 0x24
	s_load_dword s7, s[4:5], 0x50
	;; [unrolled: 1-line block ×8, first 2 shown]
	s_waitcnt lgkmcnt(0)
	s_mul_hi_u32 s4, s23, s6
	s_add_i32 s4, s6, s4
	s_lshr_b32 s4, s4, s27
	s_mul_i32 s5, s4, s19
	s_sub_i32 s5, s6, s5
	s_mul_hi_u32 s6, s4, s22
	s_add_i32 s6, s4, s6
	s_lshr_b32 s6, s6, s26
	s_mul_i32 s18, s6, s18
	s_sub_i32 s4, s4, s18
	;; [unrolled: 5-line block ×4, first 2 shown]
	v_lshrrev_b32_e32 v1, 4, v0
	s_mul_i32 s16, s16, s3
	v_and_b32_e32 v1, 14, v1
	s_mul_i32 s6, s6, s13
	s_add_i32 s4, s4, s16
	v_lshlrev_b32_e32 v6, 2, v0
	v_lshlrev_b32_e32 v2, 1, v1
	s_add_i32 s5, s5, s6
	v_and_b32_e32 v7, 0x7c, v6
	s_lshl_b32 s13, s4, 7
	v_mul_lo_u32 v3, s14, v2
	v_add3_u32 v3, v3, v7, s13
	s_lshl_b32 s3, s5, 7
	v_mul_lo_u32 v2, s15, v2
	v_add3_u32 v16, v2, v7, s3
	s_mov_b32 s4, s8
	v_add_u32_e32 v2, s14, v3
	s_lshl_b32 s8, s14, 1
	s_lshl_b32 s6, s7, 1
	s_mov_b32 s7, 0x20000
	s_mov_b32 s5, s9
	v_lshlrev_b32_e32 v12, 1, v3
	v_add_lshl_u32 v14, v2, s8, 1
	v_add_lshl_u32 v15, s8, v3, 1
	v_add_u32_e32 v18, s15, v16
	s_lshl_b32 s8, s15, 1
	v_lshlrev_b32_e32 v13, 1, v2
	buffer_load_dwordx2 v[2:3], v12, s[4:7], 0 offen
	buffer_load_dwordx2 v[4:5], v13, s[4:7], 0 offen
	;; [unrolled: 1-line block ×4, first 2 shown]
	s_lshl_b32 s6, s28, 1
	s_mov_b32 s4, s10
	s_mov_b32 s5, s11
	v_lshlrev_b32_e32 v17, 1, v16
	v_lshlrev_b32_e32 v19, 1, v18
	v_add_lshl_u32 v20, v18, s8, 1
	buffer_load_dwordx2 v[12:13], v17, s[4:7], 0 offen
	buffer_load_dwordx2 v[14:15], v19, s[4:7], 0 offen
	v_add_lshl_u32 v21, s8, v16, 1
	buffer_load_dwordx2 v[16:17], v20, s[4:7], 0 offen
	buffer_load_dwordx2 v[18:19], v21, s[4:7], 0 offen
	v_lshrrev_b32_e32 v20, 5, v0
	v_lshlrev_b32_e32 v0, 1, v0
	v_and_b32_e32 v22, 0x1f8, v0
	v_and_b32_e32 v0, 0x1fc, v0
	v_lshlrev_b32_e32 v21, 6, v20
	v_sub_u32_e32 v0, v0, v22
	s_mov_b32 s4, 0x7060302
	s_mov_b32 s5, 0x5040100
	v_sub_u32_e32 v21, v22, v21
	v_lshlrev_b32_e32 v7, 2, v7
	v_lshl_add_u32 v42, v20, 3, v0
	v_and_or_b32 v31, v6, 4, v21
	v_lshl_or_b32 v20, v1, 9, v7
	v_lshlrev_b32_e32 v66, 2, v42
	v_lshlrev_b32_e32 v67, 2, v31
	v_mov_b32_e32 v30, 0
	v_mov_b32_e32 v29, 0
	;; [unrolled: 1-line block ×39, first 2 shown]
	v_add_u32_e32 v42, s13, v42
	v_mul_lo_u32 v42, v42, s12
	v_add3_u32 v31, s3, v31, v42
	s_lshl_b32 s2, s2, 1
	s_mov_b32 s3, s7
	v_lshlrev_b32_e32 v42, 1, v31
	s_waitcnt vmcnt(6)
	v_perm_b32 v1, v4, v2, s4
	v_perm_b32 v0, v4, v2, s5
	v_perm_b32 v2, v5, v3, s5
	v_perm_b32 v3, v5, v3, s4
	s_waitcnt vmcnt(4)
	v_perm_b32 v7, v9, v11, s4
	v_perm_b32 v5, v8, v10, s4
	v_perm_b32 v4, v8, v10, s5
	v_perm_b32 v6, v9, v11, s5
	;; [unrolled: 5-line block ×4, first 2 shown]
	ds_write_b128 v20, v[0:3]
	ds_write_b128 v20, v[4:7] offset:512
	ds_write_b128 v20, v[8:11] offset:16384
	;; [unrolled: 1-line block ×3, first 2 shown]
	s_waitcnt lgkmcnt(0)
	s_barrier
	ds_read_b128 v[0:3], v66
	ds_read_b128 v[50:53], v67 offset:16384
	ds_read_b128 v[68:71], v67 offset:16640
	ds_read_b128 v[72:75], v66 offset:256
	v_mov_b32_e32 v17, 0
	v_mov_b32_e32 v14, 0
	;; [unrolled: 1-line block ×3, first 2 shown]
	s_waitcnt lgkmcnt(2)
	v_dot2c_f32_f16_e32 v30, v1, v50
	v_dot2c_f32_f16_e32 v29, v1, v51
	;; [unrolled: 1-line block ×4, first 2 shown]
	s_waitcnt lgkmcnt(1)
	v_dot2c_f32_f16_e32 v59, v1, v68
	v_dot2c_f32_f16_e32 v58, v1, v69
	;; [unrolled: 1-line block ×4, first 2 shown]
	v_mov_b32_e32 v1, 0
	v_mov_b32_e32 v19, 0
	v_dot2c_f32_f16_e32 v55, v0, v50
	v_dot2c_f32_f16_e32 v54, v0, v51
	;; [unrolled: 1-line block ×24, first 2 shown]
	s_waitcnt lgkmcnt(0)
	v_dot2c_f32_f16_e32 v1, v72, v50
	v_mov_b32_e32 v0, 0
	v_mov_b32_e32 v2, 0
	;; [unrolled: 1-line block ×3, first 2 shown]
	v_dot2c_f32_f16_e32 v9, v73, v50
	v_mov_b32_e32 v7, 0
	v_mov_b32_e32 v11, 0
	;; [unrolled: 1-line block ×3, first 2 shown]
	v_dot2c_f32_f16_e32 v19, v74, v50
	v_mov_b32_e32 v16, 0
	v_dot2c_f32_f16_e32 v45, v75, v50
	v_mov_b32_e32 v50, 0
	v_mov_b32_e32 v4, 0
	v_dot2c_f32_f16_e32 v0, v72, v51
	v_dot2c_f32_f16_e32 v2, v72, v52
	;; [unrolled: 1-line block ×12, first 2 shown]
	v_mov_b32_e32 v6, 0
	v_mov_b32_e32 v5, 0
	v_mov_b32_e32 v8, 0
	v_mov_b32_e32 v10, 0
	v_mov_b32_e32 v15, 0
	v_mov_b32_e32 v13, 0
	v_mov_b32_e32 v18, 0
	v_mov_b32_e32 v20, 0
	v_mov_b32_e32 v52, 0
	v_mov_b32_e32 v51, 0
	v_mov_b32_e32 v53, 0
	ds_read_b128 v[76:79], v66 offset:512
	ds_read_b128 v[80:83], v67 offset:16896
	v_dot2c_f32_f16_e32 v6, v72, v68
	v_dot2c_f32_f16_e32 v5, v72, v69
	;; [unrolled: 1-line block ×16, first 2 shown]
	ds_read_b128 v[68:71], v67 offset:17152
	ds_read_b128 v[72:75], v66 offset:768
	s_waitcnt lgkmcnt(2)
	v_dot2c_f32_f16_e32 v55, v76, v80
	v_dot2c_f32_f16_e32 v54, v76, v81
	v_dot2c_f32_f16_e32 v56, v76, v82
	v_dot2c_f32_f16_e32 v57, v76, v83
	v_dot2c_f32_f16_e32 v30, v77, v80
	v_dot2c_f32_f16_e32 v29, v77, v81
	v_dot2c_f32_f16_e32 v32, v77, v82
	v_dot2c_f32_f16_e32 v33, v77, v83
	v_dot2c_f32_f16_e32 v26, v78, v80
	v_dot2c_f32_f16_e32 v25, v78, v81
	v_dot2c_f32_f16_e32 v27, v78, v82
	v_dot2c_f32_f16_e32 v28, v78, v83
	v_dot2c_f32_f16_e32 v17, v79, v80
	v_dot2c_f32_f16_e32 v14, v79, v81
	v_dot2c_f32_f16_e32 v21, v79, v82
	v_dot2c_f32_f16_e32 v22, v79, v83
	s_waitcnt lgkmcnt(1)
	v_dot2c_f32_f16_e32 v63, v76, v68
	v_dot2c_f32_f16_e32 v61, v76, v69
	;; [unrolled: 1-line block ×16, first 2 shown]
	ds_read_b128 v[76:79], v66 offset:1024
	s_waitcnt lgkmcnt(1)
	v_dot2c_f32_f16_e32 v1, v72, v80
	v_dot2c_f32_f16_e32 v0, v72, v81
	;; [unrolled: 1-line block ×16, first 2 shown]
	ds_read_b128 v[80:83], v67 offset:17408
	v_dot2c_f32_f16_e32 v6, v72, v68
	v_dot2c_f32_f16_e32 v5, v72, v69
	v_dot2c_f32_f16_e32 v8, v72, v70
	v_dot2c_f32_f16_e32 v10, v72, v71
	v_dot2c_f32_f16_e32 v15, v73, v68
	v_dot2c_f32_f16_e32 v13, v73, v69
	v_dot2c_f32_f16_e32 v18, v73, v70
	v_dot2c_f32_f16_e32 v20, v73, v71
	v_dot2c_f32_f16_e32 v38, v74, v68
	v_dot2c_f32_f16_e32 v36, v74, v69
	v_dot2c_f32_f16_e32 v43, v74, v70
	v_dot2c_f32_f16_e32 v46, v74, v71
	v_dot2c_f32_f16_e32 v52, v75, v68
	v_dot2c_f32_f16_e32 v51, v75, v69
	v_dot2c_f32_f16_e32 v53, v75, v70
	v_dot2c_f32_f16_e32 v4, v75, v71
	ds_read_b128 v[68:71], v67 offset:17664
	ds_read_b128 v[72:75], v66 offset:1280
	s_waitcnt lgkmcnt(2)
	v_dot2c_f32_f16_e32 v55, v76, v80
	v_dot2c_f32_f16_e32 v54, v76, v81
	;; [unrolled: 1-line block ×16, first 2 shown]
	s_waitcnt lgkmcnt(1)
	v_dot2c_f32_f16_e32 v63, v76, v68
	v_dot2c_f32_f16_e32 v61, v76, v69
	;; [unrolled: 1-line block ×16, first 2 shown]
	ds_read_b128 v[76:79], v66 offset:1536
	s_waitcnt lgkmcnt(1)
	v_dot2c_f32_f16_e32 v1, v72, v80
	v_dot2c_f32_f16_e32 v0, v72, v81
	;; [unrolled: 1-line block ×16, first 2 shown]
	ds_read_b128 v[80:83], v67 offset:17920
	v_dot2c_f32_f16_e32 v6, v72, v68
	v_dot2c_f32_f16_e32 v5, v72, v69
	;; [unrolled: 1-line block ×16, first 2 shown]
	ds_read_b128 v[68:71], v67 offset:18176
	ds_read_b128 v[72:75], v66 offset:1792
	s_waitcnt lgkmcnt(2)
	v_dot2c_f32_f16_e32 v55, v76, v80
	v_dot2c_f32_f16_e32 v54, v76, v81
	;; [unrolled: 1-line block ×16, first 2 shown]
	s_waitcnt lgkmcnt(1)
	v_dot2c_f32_f16_e32 v63, v76, v68
	v_dot2c_f32_f16_e32 v61, v76, v69
	;; [unrolled: 1-line block ×16, first 2 shown]
	ds_read_b128 v[76:79], v66 offset:2048
	s_waitcnt lgkmcnt(1)
	v_dot2c_f32_f16_e32 v1, v72, v80
	v_dot2c_f32_f16_e32 v0, v72, v81
	;; [unrolled: 1-line block ×16, first 2 shown]
	ds_read_b128 v[80:83], v67 offset:18432
	v_dot2c_f32_f16_e32 v6, v72, v68
	v_dot2c_f32_f16_e32 v5, v72, v69
	;; [unrolled: 1-line block ×16, first 2 shown]
	ds_read_b128 v[68:71], v67 offset:18688
	ds_read_b128 v[72:75], v66 offset:2304
	s_waitcnt lgkmcnt(2)
	v_dot2c_f32_f16_e32 v55, v76, v80
	v_dot2c_f32_f16_e32 v54, v76, v81
	v_dot2c_f32_f16_e32 v56, v76, v82
	v_dot2c_f32_f16_e32 v57, v76, v83
	v_dot2c_f32_f16_e32 v30, v77, v80
	v_dot2c_f32_f16_e32 v29, v77, v81
	v_dot2c_f32_f16_e32 v32, v77, v82
	v_dot2c_f32_f16_e32 v33, v77, v83
	v_dot2c_f32_f16_e32 v26, v78, v80
	v_dot2c_f32_f16_e32 v25, v78, v81
	v_dot2c_f32_f16_e32 v27, v78, v82
	v_dot2c_f32_f16_e32 v28, v78, v83
	v_dot2c_f32_f16_e32 v17, v79, v80
	v_dot2c_f32_f16_e32 v14, v79, v81
	v_dot2c_f32_f16_e32 v21, v79, v82
	v_dot2c_f32_f16_e32 v22, v79, v83
	s_waitcnt lgkmcnt(1)
	v_dot2c_f32_f16_e32 v63, v76, v68
	v_dot2c_f32_f16_e32 v61, v76, v69
	;; [unrolled: 1-line block ×16, first 2 shown]
	ds_read_b128 v[76:79], v66 offset:2560
	s_waitcnt lgkmcnt(1)
	v_dot2c_f32_f16_e32 v1, v72, v80
	v_dot2c_f32_f16_e32 v0, v72, v81
	;; [unrolled: 1-line block ×16, first 2 shown]
	ds_read_b128 v[80:83], v67 offset:18944
	v_dot2c_f32_f16_e32 v6, v72, v68
	v_dot2c_f32_f16_e32 v5, v72, v69
	;; [unrolled: 1-line block ×16, first 2 shown]
	ds_read_b128 v[68:71], v67 offset:19200
	ds_read_b128 v[72:75], v66 offset:2816
	s_waitcnt lgkmcnt(2)
	v_dot2c_f32_f16_e32 v55, v76, v80
	v_dot2c_f32_f16_e32 v54, v76, v81
	;; [unrolled: 1-line block ×16, first 2 shown]
	s_waitcnt lgkmcnt(1)
	v_dot2c_f32_f16_e32 v63, v76, v68
	v_dot2c_f32_f16_e32 v61, v76, v69
	;; [unrolled: 1-line block ×16, first 2 shown]
	ds_read_b128 v[76:79], v66 offset:3072
	s_waitcnt lgkmcnt(1)
	v_dot2c_f32_f16_e32 v1, v72, v80
	v_dot2c_f32_f16_e32 v0, v72, v81
	;; [unrolled: 1-line block ×16, first 2 shown]
	ds_read_b128 v[80:83], v67 offset:19456
	v_dot2c_f32_f16_e32 v6, v72, v68
	v_dot2c_f32_f16_e32 v5, v72, v69
	;; [unrolled: 1-line block ×16, first 2 shown]
	ds_read_b128 v[68:71], v67 offset:19712
	ds_read_b128 v[72:75], v66 offset:3328
	s_waitcnt lgkmcnt(2)
	v_dot2c_f32_f16_e32 v55, v76, v80
	v_dot2c_f32_f16_e32 v54, v76, v81
	;; [unrolled: 1-line block ×16, first 2 shown]
	s_waitcnt lgkmcnt(1)
	v_dot2c_f32_f16_e32 v63, v76, v68
	v_dot2c_f32_f16_e32 v61, v76, v69
	;; [unrolled: 1-line block ×16, first 2 shown]
	ds_read_b128 v[76:79], v66 offset:3584
	s_waitcnt lgkmcnt(1)
	v_dot2c_f32_f16_e32 v1, v72, v80
	v_dot2c_f32_f16_e32 v0, v72, v81
	;; [unrolled: 1-line block ×16, first 2 shown]
	ds_read_b128 v[80:83], v67 offset:19968
	v_dot2c_f32_f16_e32 v6, v72, v68
	v_dot2c_f32_f16_e32 v5, v72, v69
	;; [unrolled: 1-line block ×16, first 2 shown]
	ds_read_b128 v[68:71], v67 offset:20224
	ds_read_b128 v[72:75], v66 offset:3840
	s_waitcnt lgkmcnt(2)
	v_dot2c_f32_f16_e32 v55, v76, v80
	v_dot2c_f32_f16_e32 v54, v76, v81
	;; [unrolled: 1-line block ×16, first 2 shown]
	s_waitcnt lgkmcnt(1)
	v_dot2c_f32_f16_e32 v63, v76, v68
	v_dot2c_f32_f16_e32 v61, v76, v69
	;; [unrolled: 1-line block ×16, first 2 shown]
	ds_read_b128 v[76:79], v66 offset:4096
	s_waitcnt lgkmcnt(1)
	v_dot2c_f32_f16_e32 v1, v72, v80
	v_dot2c_f32_f16_e32 v0, v72, v81
	;; [unrolled: 1-line block ×16, first 2 shown]
	ds_read_b128 v[80:83], v67 offset:20480
	v_dot2c_f32_f16_e32 v6, v72, v68
	v_dot2c_f32_f16_e32 v5, v72, v69
	;; [unrolled: 1-line block ×16, first 2 shown]
	ds_read_b128 v[68:71], v67 offset:20736
	ds_read_b128 v[72:75], v66 offset:4352
	s_waitcnt lgkmcnt(2)
	v_dot2c_f32_f16_e32 v55, v76, v80
	v_dot2c_f32_f16_e32 v54, v76, v81
	;; [unrolled: 1-line block ×16, first 2 shown]
	s_waitcnt lgkmcnt(1)
	v_dot2c_f32_f16_e32 v63, v76, v68
	v_dot2c_f32_f16_e32 v61, v76, v69
	;; [unrolled: 1-line block ×16, first 2 shown]
	ds_read_b128 v[76:79], v66 offset:4608
	s_waitcnt lgkmcnt(1)
	v_dot2c_f32_f16_e32 v1, v72, v80
	v_dot2c_f32_f16_e32 v0, v72, v81
	;; [unrolled: 1-line block ×16, first 2 shown]
	ds_read_b128 v[80:83], v67 offset:20992
	v_dot2c_f32_f16_e32 v6, v72, v68
	v_dot2c_f32_f16_e32 v5, v72, v69
	;; [unrolled: 1-line block ×16, first 2 shown]
	ds_read_b128 v[68:71], v67 offset:21248
	ds_read_b128 v[72:75], v66 offset:4864
	s_waitcnt lgkmcnt(2)
	v_dot2c_f32_f16_e32 v55, v76, v80
	v_dot2c_f32_f16_e32 v54, v76, v81
	;; [unrolled: 1-line block ×16, first 2 shown]
	s_waitcnt lgkmcnt(1)
	v_dot2c_f32_f16_e32 v63, v76, v68
	v_dot2c_f32_f16_e32 v61, v76, v69
	;; [unrolled: 1-line block ×16, first 2 shown]
	ds_read_b128 v[76:79], v66 offset:5120
	s_waitcnt lgkmcnt(1)
	v_dot2c_f32_f16_e32 v1, v72, v80
	v_dot2c_f32_f16_e32 v0, v72, v81
	v_dot2c_f32_f16_e32 v2, v72, v82
	v_dot2c_f32_f16_e32 v3, v72, v83
	v_dot2c_f32_f16_e32 v9, v73, v80
	v_dot2c_f32_f16_e32 v7, v73, v81
	v_dot2c_f32_f16_e32 v11, v73, v82
	v_dot2c_f32_f16_e32 v12, v73, v83
	v_dot2c_f32_f16_e32 v19, v74, v80
	v_dot2c_f32_f16_e32 v16, v74, v81
	v_dot2c_f32_f16_e32 v23, v74, v82
	v_dot2c_f32_f16_e32 v24, v74, v83
	v_dot2c_f32_f16_e32 v45, v75, v80
	v_dot2c_f32_f16_e32 v41, v75, v81
	v_dot2c_f32_f16_e32 v48, v75, v82
	v_dot2c_f32_f16_e32 v50, v75, v83
	ds_read_b128 v[80:83], v67 offset:21504
	v_dot2c_f32_f16_e32 v6, v72, v68
	v_dot2c_f32_f16_e32 v5, v72, v69
	;; [unrolled: 1-line block ×16, first 2 shown]
	ds_read_b128 v[68:71], v67 offset:21760
	ds_read_b128 v[72:75], v66 offset:5376
	s_waitcnt lgkmcnt(2)
	v_dot2c_f32_f16_e32 v55, v76, v80
	v_dot2c_f32_f16_e32 v54, v76, v81
	;; [unrolled: 1-line block ×16, first 2 shown]
	s_waitcnt lgkmcnt(1)
	v_dot2c_f32_f16_e32 v63, v76, v68
	v_dot2c_f32_f16_e32 v61, v76, v69
	;; [unrolled: 1-line block ×16, first 2 shown]
	ds_read_b128 v[76:79], v66 offset:5632
	s_waitcnt lgkmcnt(1)
	v_dot2c_f32_f16_e32 v1, v72, v80
	v_dot2c_f32_f16_e32 v0, v72, v81
	;; [unrolled: 1-line block ×16, first 2 shown]
	ds_read_b128 v[80:83], v67 offset:22016
	v_dot2c_f32_f16_e32 v6, v72, v68
	v_dot2c_f32_f16_e32 v5, v72, v69
	;; [unrolled: 1-line block ×16, first 2 shown]
	ds_read_b128 v[68:71], v67 offset:22272
	ds_read_b128 v[72:75], v66 offset:5888
	s_waitcnt lgkmcnt(2)
	v_dot2c_f32_f16_e32 v55, v76, v80
	v_dot2c_f32_f16_e32 v54, v76, v81
	;; [unrolled: 1-line block ×16, first 2 shown]
	s_waitcnt lgkmcnt(1)
	v_dot2c_f32_f16_e32 v63, v76, v68
	v_dot2c_f32_f16_e32 v61, v76, v69
	;; [unrolled: 1-line block ×16, first 2 shown]
	ds_read_b128 v[76:79], v66 offset:6144
	s_waitcnt lgkmcnt(1)
	v_dot2c_f32_f16_e32 v1, v72, v80
	v_dot2c_f32_f16_e32 v0, v72, v81
	;; [unrolled: 1-line block ×16, first 2 shown]
	ds_read_b128 v[80:83], v67 offset:22528
	v_dot2c_f32_f16_e32 v6, v72, v68
	v_dot2c_f32_f16_e32 v5, v72, v69
	;; [unrolled: 1-line block ×16, first 2 shown]
	ds_read_b128 v[68:71], v67 offset:22784
	ds_read_b128 v[72:75], v66 offset:6400
	s_waitcnt lgkmcnt(2)
	v_dot2c_f32_f16_e32 v55, v76, v80
	v_dot2c_f32_f16_e32 v54, v76, v81
	v_dot2c_f32_f16_e32 v56, v76, v82
	v_dot2c_f32_f16_e32 v57, v76, v83
	v_dot2c_f32_f16_e32 v30, v77, v80
	v_dot2c_f32_f16_e32 v29, v77, v81
	v_dot2c_f32_f16_e32 v32, v77, v82
	v_dot2c_f32_f16_e32 v33, v77, v83
	v_dot2c_f32_f16_e32 v26, v78, v80
	v_dot2c_f32_f16_e32 v25, v78, v81
	v_dot2c_f32_f16_e32 v27, v78, v82
	v_dot2c_f32_f16_e32 v28, v78, v83
	v_dot2c_f32_f16_e32 v17, v79, v80
	v_dot2c_f32_f16_e32 v14, v79, v81
	v_dot2c_f32_f16_e32 v21, v79, v82
	v_dot2c_f32_f16_e32 v22, v79, v83
	s_waitcnt lgkmcnt(1)
	v_dot2c_f32_f16_e32 v63, v76, v68
	v_dot2c_f32_f16_e32 v61, v76, v69
	;; [unrolled: 1-line block ×16, first 2 shown]
	ds_read_b128 v[76:79], v66 offset:6656
	s_waitcnt lgkmcnt(1)
	v_dot2c_f32_f16_e32 v1, v72, v80
	v_dot2c_f32_f16_e32 v0, v72, v81
	;; [unrolled: 1-line block ×16, first 2 shown]
	ds_read_b128 v[80:83], v67 offset:23040
	v_dot2c_f32_f16_e32 v6, v72, v68
	v_dot2c_f32_f16_e32 v5, v72, v69
	;; [unrolled: 1-line block ×16, first 2 shown]
	ds_read_b128 v[68:71], v67 offset:23296
	ds_read_b128 v[72:75], v66 offset:6912
	s_waitcnt lgkmcnt(2)
	v_dot2c_f32_f16_e32 v55, v76, v80
	v_dot2c_f32_f16_e32 v54, v76, v81
	v_dot2c_f32_f16_e32 v56, v76, v82
	v_dot2c_f32_f16_e32 v57, v76, v83
	v_dot2c_f32_f16_e32 v30, v77, v80
	v_dot2c_f32_f16_e32 v29, v77, v81
	v_dot2c_f32_f16_e32 v32, v77, v82
	v_dot2c_f32_f16_e32 v33, v77, v83
	v_dot2c_f32_f16_e32 v26, v78, v80
	v_dot2c_f32_f16_e32 v25, v78, v81
	v_dot2c_f32_f16_e32 v27, v78, v82
	v_dot2c_f32_f16_e32 v28, v78, v83
	v_dot2c_f32_f16_e32 v17, v79, v80
	v_dot2c_f32_f16_e32 v14, v79, v81
	v_dot2c_f32_f16_e32 v21, v79, v82
	v_dot2c_f32_f16_e32 v22, v79, v83
	s_waitcnt lgkmcnt(1)
	v_dot2c_f32_f16_e32 v63, v76, v68
	v_dot2c_f32_f16_e32 v61, v76, v69
	;; [unrolled: 1-line block ×16, first 2 shown]
	ds_read_b128 v[76:79], v66 offset:7168
	s_waitcnt lgkmcnt(1)
	v_dot2c_f32_f16_e32 v1, v72, v80
	v_dot2c_f32_f16_e32 v0, v72, v81
	;; [unrolled: 1-line block ×16, first 2 shown]
	ds_read_b128 v[80:83], v67 offset:23552
	v_dot2c_f32_f16_e32 v6, v72, v68
	v_dot2c_f32_f16_e32 v5, v72, v69
	;; [unrolled: 1-line block ×16, first 2 shown]
	ds_read_b128 v[68:71], v67 offset:23808
	ds_read_b128 v[72:75], v66 offset:7424
	s_waitcnt lgkmcnt(2)
	v_dot2c_f32_f16_e32 v55, v76, v80
	v_dot2c_f32_f16_e32 v54, v76, v81
	;; [unrolled: 1-line block ×16, first 2 shown]
	s_waitcnt lgkmcnt(1)
	v_dot2c_f32_f16_e32 v63, v76, v68
	v_dot2c_f32_f16_e32 v61, v76, v69
	;; [unrolled: 1-line block ×16, first 2 shown]
	ds_read_b128 v[76:79], v66 offset:7680
	s_waitcnt lgkmcnt(1)
	v_dot2c_f32_f16_e32 v1, v72, v80
	v_dot2c_f32_f16_e32 v0, v72, v81
	v_dot2c_f32_f16_e32 v2, v72, v82
	v_dot2c_f32_f16_e32 v3, v72, v83
	v_dot2c_f32_f16_e32 v9, v73, v80
	v_dot2c_f32_f16_e32 v7, v73, v81
	v_dot2c_f32_f16_e32 v11, v73, v82
	v_dot2c_f32_f16_e32 v12, v73, v83
	v_dot2c_f32_f16_e32 v19, v74, v80
	v_dot2c_f32_f16_e32 v16, v74, v81
	v_dot2c_f32_f16_e32 v23, v74, v82
	v_dot2c_f32_f16_e32 v24, v74, v83
	v_dot2c_f32_f16_e32 v45, v75, v80
	v_dot2c_f32_f16_e32 v41, v75, v81
	v_dot2c_f32_f16_e32 v48, v75, v82
	v_dot2c_f32_f16_e32 v50, v75, v83
	ds_read_b128 v[80:83], v67 offset:24064
	v_dot2c_f32_f16_e32 v6, v72, v68
	v_dot2c_f32_f16_e32 v5, v72, v69
	;; [unrolled: 1-line block ×16, first 2 shown]
	ds_read_b128 v[68:71], v67 offset:24320
	ds_read_b128 v[72:75], v66 offset:7936
	s_waitcnt lgkmcnt(2)
	v_dot2c_f32_f16_e32 v55, v76, v80
	v_dot2c_f32_f16_e32 v56, v76, v82
	;; [unrolled: 1-line block ×4, first 2 shown]
	v_cvt_f16_f32_e32 v66, v55
	v_cvt_f16_f32_e32 v55, v56
	;; [unrolled: 1-line block ×3, first 2 shown]
	s_waitcnt lgkmcnt(1)
	v_dot2c_f32_f16_e32 v63, v76, v68
	v_dot2c_f32_f16_e32 v61, v76, v69
	;; [unrolled: 1-line block ×4, first 2 shown]
	v_cvt_f16_f32_e32 v54, v54
	v_pack_b32_f16 v55, v55, v56
	v_cvt_f16_f32_e32 v56, v63
	v_cvt_f16_f32_e32 v57, v64
	;; [unrolled: 1-line block ×4, first 2 shown]
	v_dot2c_f32_f16_e32 v59, v77, v68
	v_dot2c_f32_f16_e32 v58, v77, v69
	v_dot2c_f32_f16_e32 v60, v77, v70
	v_dot2c_f32_f16_e32 v62, v77, v71
	v_pack_b32_f16 v54, v66, v54
	buffer_store_dwordx2 v[54:55], v42, s[0:3], 0 offen
	v_pack_b32_f16 v55, v57, v63
	v_pack_b32_f16 v54, v56, v61
	v_cvt_f16_f32_e32 v56, v59
	v_cvt_f16_f32_e32 v57, v60
	;; [unrolled: 1-line block ×4, first 2 shown]
	v_dot2c_f32_f16_e32 v30, v77, v80
	v_dot2c_f32_f16_e32 v29, v77, v81
	;; [unrolled: 1-line block ×6, first 2 shown]
	v_add_u32_e32 v42, 64, v31
	v_cvt_f16_f32_e32 v30, v30
	v_cvt_f16_f32_e32 v32, v32
	;; [unrolled: 1-line block ×4, first 2 shown]
	v_lshlrev_b32_e32 v60, 1, v42
	v_cvt_f16_f32_e32 v27, v27
	v_cvt_f16_f32_e32 v28, v28
	buffer_store_dwordx2 v[54:55], v60, s[0:3], 0 offen
	v_pack_b32_f16 v55, v57, v59
	v_pack_b32_f16 v54, v56, v58
	v_add_lshl_u32 v42, v42, s12, 1
	v_dot2c_f32_f16_e32 v26, v78, v80
	v_dot2c_f32_f16_e32 v25, v78, v81
	buffer_store_dwordx2 v[54:55], v42, s[0:3], 0 offen
	v_add_u32_e32 v42, s12, v31
	v_dot2c_f32_f16_e32 v44, v78, v68
	v_dot2c_f32_f16_e32 v39, v78, v69
	;; [unrolled: 1-line block ×4, first 2 shown]
	v_pack_b32_f16 v31, v32, v33
	v_pack_b32_f16 v30, v30, v29
	v_lshlrev_b32_e32 v29, 1, v42
	v_cvt_f16_f32_e32 v26, v26
	v_cvt_f16_f32_e32 v25, v25
	buffer_store_dwordx2 v[30:31], v29, s[0:3], 0 offen
	v_pack_b32_f16 v27, v27, v28
	v_cvt_f16_f32_e32 v28, v44
	v_cvt_f16_f32_e32 v30, v47
	v_cvt_f16_f32_e32 v31, v49
	v_cvt_f16_f32_e32 v32, v39
	v_add_u32_e32 v29, s12, v42
	v_dot2c_f32_f16_e32 v35, v79, v68
	v_dot2c_f32_f16_e32 v34, v79, v69
	;; [unrolled: 1-line block ×4, first 2 shown]
	v_pack_b32_f16 v26, v26, v25
	v_lshlrev_b32_e32 v25, 1, v29
	v_dot2c_f32_f16_e32 v21, v79, v82
	v_dot2c_f32_f16_e32 v22, v79, v83
	buffer_store_dwordx2 v[26:27], v25, s[0:3], 0 offen
	v_pack_b32_f16 v27, v30, v31
	v_pack_b32_f16 v26, v28, v32
	v_cvt_f16_f32_e32 v28, v35
	v_cvt_f16_f32_e32 v30, v37
	;; [unrolled: 1-line block ×6, first 2 shown]
	v_add_u32_e32 v25, 64, v29
	v_dot2c_f32_f16_e32 v17, v79, v80
	v_dot2c_f32_f16_e32 v14, v79, v81
	v_lshlrev_b32_e32 v33, 1, v25
	s_waitcnt lgkmcnt(0)
	v_dot2c_f32_f16_e32 v48, v75, v82
	v_dot2c_f32_f16_e32 v50, v75, v83
	buffer_store_dwordx2 v[26:27], v33, s[0:3], 0 offen
	v_pack_b32_f16 v27, v30, v31
	v_pack_b32_f16 v26, v28, v32
	v_add_lshl_u32 v25, v25, s12, 1
	v_cvt_f16_f32_e32 v17, v17
	v_cvt_f16_f32_e32 v14, v14
	buffer_store_dwordx2 v[26:27], v25, s[0:3], 0 offen
	v_pack_b32_f16 v27, v21, v22
	v_cvt_f16_f32_e32 v21, v48
	v_cvt_f16_f32_e32 v22, v50
	v_dot2c_f32_f16_e32 v45, v75, v80
	v_dot2c_f32_f16_e32 v41, v75, v81
	v_add_u32_e32 v25, s12, v29
	v_dot2c_f32_f16_e32 v52, v75, v68
	v_dot2c_f32_f16_e32 v51, v75, v69
	;; [unrolled: 1-line block ×4, first 2 shown]
	v_pack_b32_f16 v26, v17, v14
	v_lshlrev_b32_e32 v14, 1, v25
	v_cvt_f16_f32_e32 v17, v45
	v_cvt_f16_f32_e32 v28, v41
	buffer_store_dwordx2 v[26:27], v14, s[0:3], 0 offen
	v_lshl_add_u32 v14, s12, 6, v25
	v_pack_b32_f16 v27, v21, v22
	v_cvt_f16_f32_e32 v21, v52
	v_cvt_f16_f32_e32 v22, v53
	;; [unrolled: 1-line block ×4, first 2 shown]
	v_dot2c_f32_f16_e32 v38, v74, v68
	v_dot2c_f32_f16_e32 v36, v74, v69
	;; [unrolled: 1-line block ×4, first 2 shown]
	v_pack_b32_f16 v26, v17, v28
	v_lshlrev_b32_e32 v17, 1, v14
	buffer_store_dwordx2 v[26:27], v17, s[0:3], 0 offen
	v_pack_b32_f16 v27, v22, v4
	v_pack_b32_f16 v26, v21, v25
	v_cvt_f16_f32_e32 v17, v38
	v_cvt_f16_f32_e32 v21, v43
	;; [unrolled: 1-line block ×4, first 2 shown]
	v_add_u32_e32 v14, 64, v14
	v_dot2c_f32_f16_e32 v19, v74, v80
	v_dot2c_f32_f16_e32 v16, v74, v81
	;; [unrolled: 1-line block ×4, first 2 shown]
	v_lshlrev_b32_e32 v4, 1, v14
	v_dot2c_f32_f16_e32 v9, v73, v80
	v_dot2c_f32_f16_e32 v7, v73, v81
	v_dot2c_f32_f16_e32 v11, v73, v82
	v_dot2c_f32_f16_e32 v12, v73, v83
	buffer_store_dwordx2 v[26:27], v4, s[0:3], 0 offen
	v_pack_b32_f16 v27, v21, v22
	v_pack_b32_f16 v26, v17, v25
	v_cvt_f16_f32_e32 v19, v19
	v_cvt_f16_f32_e32 v17, v23
	;; [unrolled: 1-line block ×8, first 2 shown]
	v_subrev_u32_e32 v4, s12, v14
	v_lshlrev_b32_e32 v14, 1, v4
	v_subrev_u32_e32 v4, 64, v4
	v_dot2c_f32_f16_e32 v15, v73, v68
	v_dot2c_f32_f16_e32 v13, v73, v69
	;; [unrolled: 1-line block ×4, first 2 shown]
	buffer_store_dwordx2 v[26:27], v14, s[0:3], 0 offen
	v_pack_b32_f16 v17, v17, v21
	v_pack_b32_f16 v16, v19, v16
	v_lshlrev_b32_e32 v14, 1, v4
	buffer_store_dwordx2 v[16:17], v14, s[0:3], 0 offen
	v_pack_b32_f16 v17, v11, v12
	v_pack_b32_f16 v16, v9, v7
	v_cvt_f16_f32_e32 v9, v15
	v_cvt_f16_f32_e32 v11, v18
	v_cvt_f16_f32_e32 v12, v20
	v_cvt_f16_f32_e32 v14, v13
	v_dot2c_f32_f16_e32 v6, v72, v68
	v_dot2c_f32_f16_e32 v5, v72, v69
	;; [unrolled: 1-line block ×3, first 2 shown]
	v_pack_b32_f16 v13, v11, v12
	v_pack_b32_f16 v12, v9, v14
	v_cvt_f16_f32_e32 v6, v6
	v_cvt_f16_f32_e32 v9, v10
	;; [unrolled: 1-line block ×3, first 2 shown]
	v_subrev_u32_e32 v4, s12, v4
	v_lshlrev_b32_e32 v7, 1, v4
	v_add_u32_e32 v4, 64, v4
	v_dot2c_f32_f16_e32 v1, v72, v80
	v_dot2c_f32_f16_e32 v0, v72, v81
	;; [unrolled: 1-line block ×5, first 2 shown]
	buffer_store_dwordx2 v[16:17], v7, s[0:3], 0 offen
	v_lshlrev_b32_e32 v7, 1, v4
	buffer_store_dwordx2 v[12:13], v7, s[0:3], 0 offen
	v_cvt_f16_f32_e32 v8, v8
	v_subrev_u32_e32 v7, s12, v4
	v_pack_b32_f16 v4, v6, v10
	v_cvt_f16_f32_e32 v6, v1
	v_cvt_f16_f32_e32 v1, v2
	;; [unrolled: 1-line block ×4, first 2 shown]
	v_lshlrev_b32_e32 v3, 1, v7
	v_pack_b32_f16 v5, v8, v9
	v_pack_b32_f16 v1, v1, v2
	;; [unrolled: 1-line block ×3, first 2 shown]
	v_add_u32_e32 v2, 0xffffff80, v3
	buffer_store_dwordx2 v[4:5], v3, s[0:3], 0 offen
	buffer_store_dwordx2 v[0:1], v2, s[0:3], 0 offen
	s_endpgm
	.section	.rodata,"a",@progbits
	.p2align	6, 0x0
	.amdhsa_kernel _ZN2ck19kernel_gemm_dl_v1r3INS_28GridwiseGemmDl_km_kn_mn_v1r3ILi256EDF16_fDF16_LNS_25InMemoryDataOperationEnumE0ENS_16TensorDescriptorINS_5TupleIJNS_5EmbedINS4_IJiiEEENS4_IJNS_17integral_constantIiLi1EEEiEEELb0EEENS_7UnMergeINS4_IJiNS7_IiLi2EEEEEELb0EEENS_11PassThroughIiEEEEENS4_IJNS_8SequenceIJLi0EEEENSI_IJLi2EEEENSI_IJLi1EEEEEEENS4_IJNSI_IJLi1ELi2EEEENSI_IJLi3ELi4EEEENSI_IJLi5EEEEEEENSI_IJLi3ELi5ELi4EEEElEENS3_INS4_IJNS5_IS6_NS4_IJiS8_EEELb0EEESE_SG_EEENS4_IJSJ_SL_SK_EEESQ_SR_lEENS3_INS4_IJSU_SG_SG_EEESW_NS4_IJSN_NSI_IJLi3EEEENSI_IJLi4EEEEEEESO_lEELi128ELi128ELi16ELi2ELi4ELi4ELi1ENSI_IJLi8ELi2EEEES13_NSI_IJLi2ELi1ELi4ELi2EEEENSI_IJLi8ELi1ELi32ELi1EEEENSI_IJLi0ELi3ELi1ELi2EEEES16_NSI_IJLi1ELi1ELi4ELi1EEEES16_NSI_IJLi1ELi1ELi4ELi2EEEES14_S15_S16_S16_S17_S16_S18_NSI_IJLi0ELi1ELi2ELi3ELi4ELi5EEEELi5ELi4EEEDF16_DF16_NS3_INS4_IJSA_SE_SG_SG_NSB_INS4_IJiNS7_IiLi128EEEEEELb0EEENSF_ISC_EEEEENS4_IJSJ_SK_SL_SZ_SP_S10_EEENS4_IJSN_SO_SP_NSI_IJLi6EEEENSI_IJLi7ELi8EEEENSI_IJLi9EEEEEEENSI_IJLi6ELi7ELi8ELi9EEEElEENS3_INS4_IJSU_SE_SG_SG_S1D_S1E_EEENS4_IJSJ_SL_SK_SZ_SP_S10_EEES1K_S1L_lEENS3_INS4_IJSU_SG_SG_NSB_INS4_IJiSC_NS7_IiLi64EEEEEELb0EEES1S_EEENS4_IJSJ_SL_SK_SZ_S10_EEENS4_IJSN_SZ_S10_NSI_IJLi5ELi6ELi7EEEENSI_IJLi8ELi9ELi10EEEEEEENSI_IJLi5ELi6ELi7ELi8ELi9ELi10EEEElEENS_31BlockToCTileMap_M00_N00_M01_N01ILi128ELi128ES12_Lb0EEELb0ELb0EEEvPKT0_S24_PT1_T2_T3_T4_T5_
		.amdhsa_group_segment_fixed_size 32768
		.amdhsa_private_segment_fixed_size 0
		.amdhsa_kernarg_size 328
		.amdhsa_user_sgpr_count 6
		.amdhsa_user_sgpr_private_segment_buffer 1
		.amdhsa_user_sgpr_dispatch_ptr 0
		.amdhsa_user_sgpr_queue_ptr 0
		.amdhsa_user_sgpr_kernarg_segment_ptr 1
		.amdhsa_user_sgpr_dispatch_id 0
		.amdhsa_user_sgpr_flat_scratch_init 0
		.amdhsa_user_sgpr_kernarg_preload_length 0
		.amdhsa_user_sgpr_kernarg_preload_offset 0
		.amdhsa_user_sgpr_private_segment_size 0
		.amdhsa_uses_dynamic_stack 0
		.amdhsa_system_sgpr_private_segment_wavefront_offset 0
		.amdhsa_system_sgpr_workgroup_id_x 1
		.amdhsa_system_sgpr_workgroup_id_y 0
		.amdhsa_system_sgpr_workgroup_id_z 0
		.amdhsa_system_sgpr_workgroup_info 0
		.amdhsa_system_vgpr_workitem_id 0
		.amdhsa_next_free_vgpr 84
		.amdhsa_next_free_sgpr 29
		.amdhsa_accum_offset 84
		.amdhsa_reserve_vcc 0
		.amdhsa_reserve_flat_scratch 0
		.amdhsa_float_round_mode_32 0
		.amdhsa_float_round_mode_16_64 0
		.amdhsa_float_denorm_mode_32 3
		.amdhsa_float_denorm_mode_16_64 3
		.amdhsa_dx10_clamp 1
		.amdhsa_ieee_mode 1
		.amdhsa_fp16_overflow 0
		.amdhsa_tg_split 0
		.amdhsa_exception_fp_ieee_invalid_op 0
		.amdhsa_exception_fp_denorm_src 0
		.amdhsa_exception_fp_ieee_div_zero 0
		.amdhsa_exception_fp_ieee_overflow 0
		.amdhsa_exception_fp_ieee_underflow 0
		.amdhsa_exception_fp_ieee_inexact 0
		.amdhsa_exception_int_div_zero 0
	.end_amdhsa_kernel
	.section	.text._ZN2ck19kernel_gemm_dl_v1r3INS_28GridwiseGemmDl_km_kn_mn_v1r3ILi256EDF16_fDF16_LNS_25InMemoryDataOperationEnumE0ENS_16TensorDescriptorINS_5TupleIJNS_5EmbedINS4_IJiiEEENS4_IJNS_17integral_constantIiLi1EEEiEEELb0EEENS_7UnMergeINS4_IJiNS7_IiLi2EEEEEELb0EEENS_11PassThroughIiEEEEENS4_IJNS_8SequenceIJLi0EEEENSI_IJLi2EEEENSI_IJLi1EEEEEEENS4_IJNSI_IJLi1ELi2EEEENSI_IJLi3ELi4EEEENSI_IJLi5EEEEEEENSI_IJLi3ELi5ELi4EEEElEENS3_INS4_IJNS5_IS6_NS4_IJiS8_EEELb0EEESE_SG_EEENS4_IJSJ_SL_SK_EEESQ_SR_lEENS3_INS4_IJSU_SG_SG_EEESW_NS4_IJSN_NSI_IJLi3EEEENSI_IJLi4EEEEEEESO_lEELi128ELi128ELi16ELi2ELi4ELi4ELi1ENSI_IJLi8ELi2EEEES13_NSI_IJLi2ELi1ELi4ELi2EEEENSI_IJLi8ELi1ELi32ELi1EEEENSI_IJLi0ELi3ELi1ELi2EEEES16_NSI_IJLi1ELi1ELi4ELi1EEEES16_NSI_IJLi1ELi1ELi4ELi2EEEES14_S15_S16_S16_S17_S16_S18_NSI_IJLi0ELi1ELi2ELi3ELi4ELi5EEEELi5ELi4EEEDF16_DF16_NS3_INS4_IJSA_SE_SG_SG_NSB_INS4_IJiNS7_IiLi128EEEEEELb0EEENSF_ISC_EEEEENS4_IJSJ_SK_SL_SZ_SP_S10_EEENS4_IJSN_SO_SP_NSI_IJLi6EEEENSI_IJLi7ELi8EEEENSI_IJLi9EEEEEEENSI_IJLi6ELi7ELi8ELi9EEEElEENS3_INS4_IJSU_SE_SG_SG_S1D_S1E_EEENS4_IJSJ_SL_SK_SZ_SP_S10_EEES1K_S1L_lEENS3_INS4_IJSU_SG_SG_NSB_INS4_IJiSC_NS7_IiLi64EEEEEELb0EEES1S_EEENS4_IJSJ_SL_SK_SZ_S10_EEENS4_IJSN_SZ_S10_NSI_IJLi5ELi6ELi7EEEENSI_IJLi8ELi9ELi10EEEEEEENSI_IJLi5ELi6ELi7ELi8ELi9ELi10EEEElEENS_31BlockToCTileMap_M00_N00_M01_N01ILi128ELi128ES12_Lb0EEELb0ELb0EEEvPKT0_S24_PT1_T2_T3_T4_T5_,"axG",@progbits,_ZN2ck19kernel_gemm_dl_v1r3INS_28GridwiseGemmDl_km_kn_mn_v1r3ILi256EDF16_fDF16_LNS_25InMemoryDataOperationEnumE0ENS_16TensorDescriptorINS_5TupleIJNS_5EmbedINS4_IJiiEEENS4_IJNS_17integral_constantIiLi1EEEiEEELb0EEENS_7UnMergeINS4_IJiNS7_IiLi2EEEEEELb0EEENS_11PassThroughIiEEEEENS4_IJNS_8SequenceIJLi0EEEENSI_IJLi2EEEENSI_IJLi1EEEEEEENS4_IJNSI_IJLi1ELi2EEEENSI_IJLi3ELi4EEEENSI_IJLi5EEEEEEENSI_IJLi3ELi5ELi4EEEElEENS3_INS4_IJNS5_IS6_NS4_IJiS8_EEELb0EEESE_SG_EEENS4_IJSJ_SL_SK_EEESQ_SR_lEENS3_INS4_IJSU_SG_SG_EEESW_NS4_IJSN_NSI_IJLi3EEEENSI_IJLi4EEEEEEESO_lEELi128ELi128ELi16ELi2ELi4ELi4ELi1ENSI_IJLi8ELi2EEEES13_NSI_IJLi2ELi1ELi4ELi2EEEENSI_IJLi8ELi1ELi32ELi1EEEENSI_IJLi0ELi3ELi1ELi2EEEES16_NSI_IJLi1ELi1ELi4ELi1EEEES16_NSI_IJLi1ELi1ELi4ELi2EEEES14_S15_S16_S16_S17_S16_S18_NSI_IJLi0ELi1ELi2ELi3ELi4ELi5EEEELi5ELi4EEEDF16_DF16_NS3_INS4_IJSA_SE_SG_SG_NSB_INS4_IJiNS7_IiLi128EEEEEELb0EEENSF_ISC_EEEEENS4_IJSJ_SK_SL_SZ_SP_S10_EEENS4_IJSN_SO_SP_NSI_IJLi6EEEENSI_IJLi7ELi8EEEENSI_IJLi9EEEEEEENSI_IJLi6ELi7ELi8ELi9EEEElEENS3_INS4_IJSU_SE_SG_SG_S1D_S1E_EEENS4_IJSJ_SL_SK_SZ_SP_S10_EEES1K_S1L_lEENS3_INS4_IJSU_SG_SG_NSB_INS4_IJiSC_NS7_IiLi64EEEEEELb0EEES1S_EEENS4_IJSJ_SL_SK_SZ_S10_EEENS4_IJSN_SZ_S10_NSI_IJLi5ELi6ELi7EEEENSI_IJLi8ELi9ELi10EEEEEEENSI_IJLi5ELi6ELi7ELi8ELi9ELi10EEEElEENS_31BlockToCTileMap_M00_N00_M01_N01ILi128ELi128ES12_Lb0EEELb0ELb0EEEvPKT0_S24_PT1_T2_T3_T4_T5_,comdat
.Lfunc_end4:
	.size	_ZN2ck19kernel_gemm_dl_v1r3INS_28GridwiseGemmDl_km_kn_mn_v1r3ILi256EDF16_fDF16_LNS_25InMemoryDataOperationEnumE0ENS_16TensorDescriptorINS_5TupleIJNS_5EmbedINS4_IJiiEEENS4_IJNS_17integral_constantIiLi1EEEiEEELb0EEENS_7UnMergeINS4_IJiNS7_IiLi2EEEEEELb0EEENS_11PassThroughIiEEEEENS4_IJNS_8SequenceIJLi0EEEENSI_IJLi2EEEENSI_IJLi1EEEEEEENS4_IJNSI_IJLi1ELi2EEEENSI_IJLi3ELi4EEEENSI_IJLi5EEEEEEENSI_IJLi3ELi5ELi4EEEElEENS3_INS4_IJNS5_IS6_NS4_IJiS8_EEELb0EEESE_SG_EEENS4_IJSJ_SL_SK_EEESQ_SR_lEENS3_INS4_IJSU_SG_SG_EEESW_NS4_IJSN_NSI_IJLi3EEEENSI_IJLi4EEEEEEESO_lEELi128ELi128ELi16ELi2ELi4ELi4ELi1ENSI_IJLi8ELi2EEEES13_NSI_IJLi2ELi1ELi4ELi2EEEENSI_IJLi8ELi1ELi32ELi1EEEENSI_IJLi0ELi3ELi1ELi2EEEES16_NSI_IJLi1ELi1ELi4ELi1EEEES16_NSI_IJLi1ELi1ELi4ELi2EEEES14_S15_S16_S16_S17_S16_S18_NSI_IJLi0ELi1ELi2ELi3ELi4ELi5EEEELi5ELi4EEEDF16_DF16_NS3_INS4_IJSA_SE_SG_SG_NSB_INS4_IJiNS7_IiLi128EEEEEELb0EEENSF_ISC_EEEEENS4_IJSJ_SK_SL_SZ_SP_S10_EEENS4_IJSN_SO_SP_NSI_IJLi6EEEENSI_IJLi7ELi8EEEENSI_IJLi9EEEEEEENSI_IJLi6ELi7ELi8ELi9EEEElEENS3_INS4_IJSU_SE_SG_SG_S1D_S1E_EEENS4_IJSJ_SL_SK_SZ_SP_S10_EEES1K_S1L_lEENS3_INS4_IJSU_SG_SG_NSB_INS4_IJiSC_NS7_IiLi64EEEEEELb0EEES1S_EEENS4_IJSJ_SL_SK_SZ_S10_EEENS4_IJSN_SZ_S10_NSI_IJLi5ELi6ELi7EEEENSI_IJLi8ELi9ELi10EEEEEEENSI_IJLi5ELi6ELi7ELi8ELi9ELi10EEEElEENS_31BlockToCTileMap_M00_N00_M01_N01ILi128ELi128ES12_Lb0EEELb0ELb0EEEvPKT0_S24_PT1_T2_T3_T4_T5_, .Lfunc_end4-_ZN2ck19kernel_gemm_dl_v1r3INS_28GridwiseGemmDl_km_kn_mn_v1r3ILi256EDF16_fDF16_LNS_25InMemoryDataOperationEnumE0ENS_16TensorDescriptorINS_5TupleIJNS_5EmbedINS4_IJiiEEENS4_IJNS_17integral_constantIiLi1EEEiEEELb0EEENS_7UnMergeINS4_IJiNS7_IiLi2EEEEEELb0EEENS_11PassThroughIiEEEEENS4_IJNS_8SequenceIJLi0EEEENSI_IJLi2EEEENSI_IJLi1EEEEEEENS4_IJNSI_IJLi1ELi2EEEENSI_IJLi3ELi4EEEENSI_IJLi5EEEEEEENSI_IJLi3ELi5ELi4EEEElEENS3_INS4_IJNS5_IS6_NS4_IJiS8_EEELb0EEESE_SG_EEENS4_IJSJ_SL_SK_EEESQ_SR_lEENS3_INS4_IJSU_SG_SG_EEESW_NS4_IJSN_NSI_IJLi3EEEENSI_IJLi4EEEEEEESO_lEELi128ELi128ELi16ELi2ELi4ELi4ELi1ENSI_IJLi8ELi2EEEES13_NSI_IJLi2ELi1ELi4ELi2EEEENSI_IJLi8ELi1ELi32ELi1EEEENSI_IJLi0ELi3ELi1ELi2EEEES16_NSI_IJLi1ELi1ELi4ELi1EEEES16_NSI_IJLi1ELi1ELi4ELi2EEEES14_S15_S16_S16_S17_S16_S18_NSI_IJLi0ELi1ELi2ELi3ELi4ELi5EEEELi5ELi4EEEDF16_DF16_NS3_INS4_IJSA_SE_SG_SG_NSB_INS4_IJiNS7_IiLi128EEEEEELb0EEENSF_ISC_EEEEENS4_IJSJ_SK_SL_SZ_SP_S10_EEENS4_IJSN_SO_SP_NSI_IJLi6EEEENSI_IJLi7ELi8EEEENSI_IJLi9EEEEEEENSI_IJLi6ELi7ELi8ELi9EEEElEENS3_INS4_IJSU_SE_SG_SG_S1D_S1E_EEENS4_IJSJ_SL_SK_SZ_SP_S10_EEES1K_S1L_lEENS3_INS4_IJSU_SG_SG_NSB_INS4_IJiSC_NS7_IiLi64EEEEEELb0EEES1S_EEENS4_IJSJ_SL_SK_SZ_S10_EEENS4_IJSN_SZ_S10_NSI_IJLi5ELi6ELi7EEEENSI_IJLi8ELi9ELi10EEEEEEENSI_IJLi5ELi6ELi7ELi8ELi9ELi10EEEElEENS_31BlockToCTileMap_M00_N00_M01_N01ILi128ELi128ES12_Lb0EEELb0ELb0EEEvPKT0_S24_PT1_T2_T3_T4_T5_
                                        ; -- End function
	.section	.AMDGPU.csdata,"",@progbits
; Kernel info:
; codeLenInByte = 6556
; NumSgprs: 33
; NumVgprs: 84
; NumAgprs: 0
; TotalNumVgprs: 84
; ScratchSize: 0
; MemoryBound: 0
; FloatMode: 240
; IeeeMode: 1
; LDSByteSize: 32768 bytes/workgroup (compile time only)
; SGPRBlocks: 4
; VGPRBlocks: 10
; NumSGPRsForWavesPerEU: 33
; NumVGPRsForWavesPerEU: 84
; AccumOffset: 84
; Occupancy: 2
; WaveLimiterHint : 0
; COMPUTE_PGM_RSRC2:SCRATCH_EN: 0
; COMPUTE_PGM_RSRC2:USER_SGPR: 6
; COMPUTE_PGM_RSRC2:TRAP_HANDLER: 0
; COMPUTE_PGM_RSRC2:TGID_X_EN: 1
; COMPUTE_PGM_RSRC2:TGID_Y_EN: 0
; COMPUTE_PGM_RSRC2:TGID_Z_EN: 0
; COMPUTE_PGM_RSRC2:TIDIG_COMP_CNT: 0
; COMPUTE_PGM_RSRC3_GFX90A:ACCUM_OFFSET: 20
; COMPUTE_PGM_RSRC3_GFX90A:TG_SPLIT: 0
	.section	.text._ZN2ck17naive_gemm_kernelINS_13tensor_layout4gemm11ColumnMajorENS2_8RowMajorES4_DF16_DF16_DF16_fNS_16tensor_operation12element_wise11PassThroughES7_S7_DF16_DF16_EEvPKT2_PKT3_PT4_iiiT6_T7_T8_,"axG",@progbits,_ZN2ck17naive_gemm_kernelINS_13tensor_layout4gemm11ColumnMajorENS2_8RowMajorES4_DF16_DF16_DF16_fNS_16tensor_operation12element_wise11PassThroughES7_S7_DF16_DF16_EEvPKT2_PKT3_PT4_iiiT6_T7_T8_,comdat
	.protected	_ZN2ck17naive_gemm_kernelINS_13tensor_layout4gemm11ColumnMajorENS2_8RowMajorES4_DF16_DF16_DF16_fNS_16tensor_operation12element_wise11PassThroughES7_S7_DF16_DF16_EEvPKT2_PKT3_PT4_iiiT6_T7_T8_ ; -- Begin function _ZN2ck17naive_gemm_kernelINS_13tensor_layout4gemm11ColumnMajorENS2_8RowMajorES4_DF16_DF16_DF16_fNS_16tensor_operation12element_wise11PassThroughES7_S7_DF16_DF16_EEvPKT2_PKT3_PT4_iiiT6_T7_T8_
	.globl	_ZN2ck17naive_gemm_kernelINS_13tensor_layout4gemm11ColumnMajorENS2_8RowMajorES4_DF16_DF16_DF16_fNS_16tensor_operation12element_wise11PassThroughES7_S7_DF16_DF16_EEvPKT2_PKT3_PT4_iiiT6_T7_T8_
	.p2align	8
	.type	_ZN2ck17naive_gemm_kernelINS_13tensor_layout4gemm11ColumnMajorENS2_8RowMajorES4_DF16_DF16_DF16_fNS_16tensor_operation12element_wise11PassThroughES7_S7_DF16_DF16_EEvPKT2_PKT3_PT4_iiiT6_T7_T8_,@function
_ZN2ck17naive_gemm_kernelINS_13tensor_layout4gemm11ColumnMajorENS2_8RowMajorES4_DF16_DF16_DF16_fNS_16tensor_operation12element_wise11PassThroughES7_S7_DF16_DF16_EEvPKT2_PKT3_PT4_iiiT6_T7_T8_: ; @_ZN2ck17naive_gemm_kernelINS_13tensor_layout4gemm11ColumnMajorENS2_8RowMajorES4_DF16_DF16_DF16_fNS_16tensor_operation12element_wise11PassThroughES7_S7_DF16_DF16_EEvPKT2_PKT3_PT4_iiiT6_T7_T8_
; %bb.0:
	s_load_dword s0, s[4:5], 0x34
	s_load_dwordx4 s[8:11], s[4:5], 0x18
	v_and_b32_e32 v1, 0x3ff, v0
	v_bfe_u32 v0, v0, 10, 10
	s_waitcnt lgkmcnt(0)
	s_lshr_b32 s1, s0, 16
	s_and_b32 s0, s0, 0xffff
	s_mul_i32 s6, s6, s0
	s_mul_i32 s7, s7, s1
	v_add_u32_e32 v1, s6, v1
	v_add_u32_e32 v0, s7, v0
	v_cmp_gt_i32_e32 vcc, s8, v1
	v_cmp_gt_i32_e64 s[0:1], s9, v0
	s_and_b64 s[0:1], vcc, s[0:1]
	s_and_saveexec_b64 s[2:3], s[0:1]
	s_cbranch_execz .LBB5_7
; %bb.1:
	s_load_dwordx2 s[6:7], s[4:5], 0x10
	s_cmp_lt_i32 s10, 1
	s_cbranch_scc1 .LBB5_5
; %bb.2:
	s_load_dwordx4 s[0:3], s[4:5], 0x0
	v_mov_b32_e32 v6, 0
	v_mov_b32_e32 v2, v1
	;; [unrolled: 1-line block ×3, first 2 shown]
	s_waitcnt lgkmcnt(0)
	v_mov_b32_e32 v7, s1
	v_mov_b32_e32 v8, s3
.LBB5_3:                                ; =>This Inner Loop Header: Depth=1
	v_ashrrev_i32_e32 v3, 31, v2
	v_lshlrev_b64 v[10:11], 1, v[2:3]
	v_add_co_u32_e32 v10, vcc, s0, v10
	v_addc_co_u32_e32 v11, vcc, v7, v11, vcc
	v_ashrrev_i32_e32 v5, 31, v4
	global_load_ushort v3, v[10:11], off
	v_lshlrev_b64 v[10:11], 1, v[4:5]
	v_add_co_u32_e32 v10, vcc, s2, v10
	v_addc_co_u32_e32 v11, vcc, v8, v11, vcc
	global_load_ushort v5, v[10:11], off
	s_add_i32 s10, s10, -1
	v_add_u32_e32 v4, s9, v4
	s_cmp_eq_u32 s10, 0
	v_add_u32_e32 v2, s8, v2
	s_waitcnt vmcnt(0)
	v_fma_mix_f32 v6, v3, v5, v6 op_sel_hi:[1,1,0]
	s_cbranch_scc0 .LBB5_3
; %bb.4:
	v_cvt_f16_f32_e32 v2, v6
	s_branch .LBB5_6
.LBB5_5:
	v_mov_b32_e32 v2, 0
.LBB5_6:
	v_mad_u64_u32 v[0:1], s[0:1], v1, s9, v[0:1]
	v_ashrrev_i32_e32 v1, 31, v0
	v_lshlrev_b64 v[0:1], 1, v[0:1]
	s_waitcnt lgkmcnt(0)
	v_mov_b32_e32 v3, s7
	v_add_co_u32_e32 v0, vcc, s6, v0
	v_addc_co_u32_e32 v1, vcc, v3, v1, vcc
	global_store_short v[0:1], v2, off
.LBB5_7:
	s_endpgm
	.section	.rodata,"a",@progbits
	.p2align	6, 0x0
	.amdhsa_kernel _ZN2ck17naive_gemm_kernelINS_13tensor_layout4gemm11ColumnMajorENS2_8RowMajorES4_DF16_DF16_DF16_fNS_16tensor_operation12element_wise11PassThroughES7_S7_DF16_DF16_EEvPKT2_PKT3_PT4_iiiT6_T7_T8_
		.amdhsa_group_segment_fixed_size 0
		.amdhsa_private_segment_fixed_size 0
		.amdhsa_kernarg_size 296
		.amdhsa_user_sgpr_count 6
		.amdhsa_user_sgpr_private_segment_buffer 1
		.amdhsa_user_sgpr_dispatch_ptr 0
		.amdhsa_user_sgpr_queue_ptr 0
		.amdhsa_user_sgpr_kernarg_segment_ptr 1
		.amdhsa_user_sgpr_dispatch_id 0
		.amdhsa_user_sgpr_flat_scratch_init 0
		.amdhsa_user_sgpr_kernarg_preload_length 0
		.amdhsa_user_sgpr_kernarg_preload_offset 0
		.amdhsa_user_sgpr_private_segment_size 0
		.amdhsa_uses_dynamic_stack 0
		.amdhsa_system_sgpr_private_segment_wavefront_offset 0
		.amdhsa_system_sgpr_workgroup_id_x 1
		.amdhsa_system_sgpr_workgroup_id_y 1
		.amdhsa_system_sgpr_workgroup_id_z 0
		.amdhsa_system_sgpr_workgroup_info 0
		.amdhsa_system_vgpr_workitem_id 1
		.amdhsa_next_free_vgpr 12
		.amdhsa_next_free_sgpr 12
		.amdhsa_accum_offset 12
		.amdhsa_reserve_vcc 1
		.amdhsa_reserve_flat_scratch 0
		.amdhsa_float_round_mode_32 0
		.amdhsa_float_round_mode_16_64 0
		.amdhsa_float_denorm_mode_32 3
		.amdhsa_float_denorm_mode_16_64 3
		.amdhsa_dx10_clamp 1
		.amdhsa_ieee_mode 1
		.amdhsa_fp16_overflow 0
		.amdhsa_tg_split 0
		.amdhsa_exception_fp_ieee_invalid_op 0
		.amdhsa_exception_fp_denorm_src 0
		.amdhsa_exception_fp_ieee_div_zero 0
		.amdhsa_exception_fp_ieee_overflow 0
		.amdhsa_exception_fp_ieee_underflow 0
		.amdhsa_exception_fp_ieee_inexact 0
		.amdhsa_exception_int_div_zero 0
	.end_amdhsa_kernel
	.section	.text._ZN2ck17naive_gemm_kernelINS_13tensor_layout4gemm11ColumnMajorENS2_8RowMajorES4_DF16_DF16_DF16_fNS_16tensor_operation12element_wise11PassThroughES7_S7_DF16_DF16_EEvPKT2_PKT3_PT4_iiiT6_T7_T8_,"axG",@progbits,_ZN2ck17naive_gemm_kernelINS_13tensor_layout4gemm11ColumnMajorENS2_8RowMajorES4_DF16_DF16_DF16_fNS_16tensor_operation12element_wise11PassThroughES7_S7_DF16_DF16_EEvPKT2_PKT3_PT4_iiiT6_T7_T8_,comdat
.Lfunc_end5:
	.size	_ZN2ck17naive_gemm_kernelINS_13tensor_layout4gemm11ColumnMajorENS2_8RowMajorES4_DF16_DF16_DF16_fNS_16tensor_operation12element_wise11PassThroughES7_S7_DF16_DF16_EEvPKT2_PKT3_PT4_iiiT6_T7_T8_, .Lfunc_end5-_ZN2ck17naive_gemm_kernelINS_13tensor_layout4gemm11ColumnMajorENS2_8RowMajorES4_DF16_DF16_DF16_fNS_16tensor_operation12element_wise11PassThroughES7_S7_DF16_DF16_EEvPKT2_PKT3_PT4_iiiT6_T7_T8_
                                        ; -- End function
	.section	.AMDGPU.csdata,"",@progbits
; Kernel info:
; codeLenInByte = 284
; NumSgprs: 16
; NumVgprs: 12
; NumAgprs: 0
; TotalNumVgprs: 12
; ScratchSize: 0
; MemoryBound: 0
; FloatMode: 240
; IeeeMode: 1
; LDSByteSize: 0 bytes/workgroup (compile time only)
; SGPRBlocks: 1
; VGPRBlocks: 1
; NumSGPRsForWavesPerEU: 16
; NumVGPRsForWavesPerEU: 12
; AccumOffset: 12
; Occupancy: 8
; WaveLimiterHint : 0
; COMPUTE_PGM_RSRC2:SCRATCH_EN: 0
; COMPUTE_PGM_RSRC2:USER_SGPR: 6
; COMPUTE_PGM_RSRC2:TRAP_HANDLER: 0
; COMPUTE_PGM_RSRC2:TGID_X_EN: 1
; COMPUTE_PGM_RSRC2:TGID_Y_EN: 1
; COMPUTE_PGM_RSRC2:TGID_Z_EN: 0
; COMPUTE_PGM_RSRC2:TIDIG_COMP_CNT: 1
; COMPUTE_PGM_RSRC3_GFX90A:ACCUM_OFFSET: 2
; COMPUTE_PGM_RSRC3_GFX90A:TG_SPLIT: 0
	.text
	.p2alignl 6, 3212836864
	.fill 256, 4, 3212836864
	.type	__hip_cuid_8f3c07c5c02cbca4,@object ; @__hip_cuid_8f3c07c5c02cbca4
	.section	.bss,"aw",@nobits
	.globl	__hip_cuid_8f3c07c5c02cbca4
__hip_cuid_8f3c07c5c02cbca4:
	.byte	0                               ; 0x0
	.size	__hip_cuid_8f3c07c5c02cbca4, 1

	.ident	"AMD clang version 19.0.0git (https://github.com/RadeonOpenCompute/llvm-project roc-6.4.0 25133 c7fe45cf4b819c5991fe208aaa96edf142730f1d)"
	.section	".note.GNU-stack","",@progbits
	.addrsig
	.addrsig_sym __hip_cuid_8f3c07c5c02cbca4
	.amdgpu_metadata
---
amdhsa.kernels:
  - .agpr_count:     0
    .args:           []
    .group_segment_fixed_size: 0
    .kernarg_segment_align: 4
    .kernarg_segment_size: 0
    .language:       OpenCL C
    .language_version:
      - 2
      - 0
    .max_flat_workgroup_size: 1024
    .name:           _ZN2ckL12flush_icacheEv
    .private_segment_fixed_size: 0
    .sgpr_count:     4
    .sgpr_spill_count: 0
    .symbol:         _ZN2ckL12flush_icacheEv.kd
    .uniform_work_group_size: 1
    .uses_dynamic_stack: false
    .vgpr_count:     0
    .vgpr_spill_count: 0
    .wavefront_size: 64
  - .agpr_count:     0
    .args:
      - .address_space:  global
        .offset:         0
        .size:           8
        .value_kind:     global_buffer
      - .address_space:  global
        .offset:         8
        .size:           8
        .value_kind:     global_buffer
      - .address_space:  global
        .offset:         16
        .size:           8
        .value_kind:     global_buffer
      - .offset:         24
        .size:           64
        .value_kind:     by_value
      - .offset:         88
        .size:           64
        .value_kind:     by_value
      - .offset:         152
        .size:           64
        .value_kind:     by_value
      - .offset:         216
        .size:           112
        .value_kind:     by_value
    .group_segment_fixed_size: 32768
    .kernarg_segment_align: 8
    .kernarg_segment_size: 328
    .language:       OpenCL C
    .language_version:
      - 2
      - 0
    .max_flat_workgroup_size: 256
    .name:           _ZN2ck19kernel_gemm_dl_v1r3INS_28GridwiseGemmDl_km_kn_mn_v1r3ILi256EDF16_fDF16_LNS_25InMemoryDataOperationEnumE0ENS_16TensorDescriptorINS_5TupleIJNS_5EmbedINS4_IJiiEEENS4_IJNS_17integral_constantIiLi1EEEiEEELb0EEENS_7UnMergeINS4_IJiNS7_IiLi2EEEEEELb0EEENS_11PassThroughIiEEEEENS4_IJNS_8SequenceIJLi0EEEENSI_IJLi2EEEENSI_IJLi1EEEEEEENS4_IJNSI_IJLi1ELi2EEEENSI_IJLi3ELi4EEEENSI_IJLi5EEEEEEENSI_IJLi3ELi5ELi4EEEElEENS3_INS4_IJNS5_IS6_NS4_IJiS8_EEELb0EEESE_SG_EEENS4_IJSJ_SL_SK_EEESQ_SR_lEENS3_INS4_IJSU_SG_SG_EEESW_NS4_IJSN_NSI_IJLi3EEEENSI_IJLi4EEEEEEESO_lEELi128ELi128ELi16ELi2ELi4ELi4ELi1ENSI_IJLi8ELi2EEEES13_NSI_IJLi2ELi1ELi4ELi2EEEENSI_IJLi8ELi1ELi32ELi1EEEENSI_IJLi0ELi3ELi1ELi2EEEES16_NSI_IJLi1ELi1ELi4ELi1EEEES16_NSI_IJLi1ELi1ELi4ELi2EEEES14_S15_S16_S16_S17_S16_S18_NSI_IJLi0ELi1ELi2ELi3ELi4ELi5EEEELi5ELi4EEEDF16_DF16_NS3_INS4_IJSA_SE_SG_SG_NSB_INS4_IJiNS7_IiLi128EEEEEELb0EEENSF_ISC_EEEEENS4_IJSJ_SK_SL_SZ_SP_S10_EEENS4_IJSN_SO_SP_NSI_IJLi6EEEENSI_IJLi7ELi8EEEENSI_IJLi9EEEEEEENSI_IJLi6ELi7ELi8ELi9EEEElEENS3_INS4_IJSU_SE_SG_SG_S1D_S1E_EEENS4_IJSJ_SL_SK_SZ_SP_S10_EEES1K_S1L_lEENS3_INS4_IJSU_SG_SG_NSB_INS4_IJiSC_NS7_IiLi64EEEEEELb0EEES1S_EEENS4_IJSJ_SL_SK_SZ_S10_EEENS4_IJSN_SZ_S10_NSI_IJLi5ELi6ELi7EEEENSI_IJLi8ELi9ELi10EEEEEEENSI_IJLi5ELi6ELi7ELi8ELi9ELi10EEEElEENS_31BlockToCTileMap_M00_N00_M01_N01ILi128ELi128ES12_Lb0EEELb1ELb1EEEvPKT0_S24_PT1_T2_T3_T4_T5_
    .private_segment_fixed_size: 0
    .sgpr_count:     47
    .sgpr_spill_count: 0
    .symbol:         _ZN2ck19kernel_gemm_dl_v1r3INS_28GridwiseGemmDl_km_kn_mn_v1r3ILi256EDF16_fDF16_LNS_25InMemoryDataOperationEnumE0ENS_16TensorDescriptorINS_5TupleIJNS_5EmbedINS4_IJiiEEENS4_IJNS_17integral_constantIiLi1EEEiEEELb0EEENS_7UnMergeINS4_IJiNS7_IiLi2EEEEEELb0EEENS_11PassThroughIiEEEEENS4_IJNS_8SequenceIJLi0EEEENSI_IJLi2EEEENSI_IJLi1EEEEEEENS4_IJNSI_IJLi1ELi2EEEENSI_IJLi3ELi4EEEENSI_IJLi5EEEEEEENSI_IJLi3ELi5ELi4EEEElEENS3_INS4_IJNS5_IS6_NS4_IJiS8_EEELb0EEESE_SG_EEENS4_IJSJ_SL_SK_EEESQ_SR_lEENS3_INS4_IJSU_SG_SG_EEESW_NS4_IJSN_NSI_IJLi3EEEENSI_IJLi4EEEEEEESO_lEELi128ELi128ELi16ELi2ELi4ELi4ELi1ENSI_IJLi8ELi2EEEES13_NSI_IJLi2ELi1ELi4ELi2EEEENSI_IJLi8ELi1ELi32ELi1EEEENSI_IJLi0ELi3ELi1ELi2EEEES16_NSI_IJLi1ELi1ELi4ELi1EEEES16_NSI_IJLi1ELi1ELi4ELi2EEEES14_S15_S16_S16_S17_S16_S18_NSI_IJLi0ELi1ELi2ELi3ELi4ELi5EEEELi5ELi4EEEDF16_DF16_NS3_INS4_IJSA_SE_SG_SG_NSB_INS4_IJiNS7_IiLi128EEEEEELb0EEENSF_ISC_EEEEENS4_IJSJ_SK_SL_SZ_SP_S10_EEENS4_IJSN_SO_SP_NSI_IJLi6EEEENSI_IJLi7ELi8EEEENSI_IJLi9EEEEEEENSI_IJLi6ELi7ELi8ELi9EEEElEENS3_INS4_IJSU_SE_SG_SG_S1D_S1E_EEENS4_IJSJ_SL_SK_SZ_SP_S10_EEES1K_S1L_lEENS3_INS4_IJSU_SG_SG_NSB_INS4_IJiSC_NS7_IiLi64EEEEEELb0EEES1S_EEENS4_IJSJ_SL_SK_SZ_S10_EEENS4_IJSN_SZ_S10_NSI_IJLi5ELi6ELi7EEEENSI_IJLi8ELi9ELi10EEEEEEENSI_IJLi5ELi6ELi7ELi8ELi9ELi10EEEElEENS_31BlockToCTileMap_M00_N00_M01_N01ILi128ELi128ES12_Lb0EEELb1ELb1EEEvPKT0_S24_PT1_T2_T3_T4_T5_.kd
    .uniform_work_group_size: 1
    .uses_dynamic_stack: false
    .vgpr_count:     112
    .vgpr_spill_count: 0
    .wavefront_size: 64
  - .agpr_count:     0
    .args:
      - .address_space:  global
        .offset:         0
        .size:           8
        .value_kind:     global_buffer
      - .address_space:  global
        .offset:         8
        .size:           8
        .value_kind:     global_buffer
      - .address_space:  global
        .offset:         16
        .size:           8
        .value_kind:     global_buffer
      - .offset:         24
        .size:           64
        .value_kind:     by_value
      - .offset:         88
        .size:           64
        .value_kind:     by_value
      - .offset:         152
        .size:           64
        .value_kind:     by_value
      - .offset:         216
        .size:           112
        .value_kind:     by_value
    .group_segment_fixed_size: 32768
    .kernarg_segment_align: 8
    .kernarg_segment_size: 328
    .language:       OpenCL C
    .language_version:
      - 2
      - 0
    .max_flat_workgroup_size: 256
    .name:           _ZN2ck19kernel_gemm_dl_v1r3INS_28GridwiseGemmDl_km_kn_mn_v1r3ILi256EDF16_fDF16_LNS_25InMemoryDataOperationEnumE0ENS_16TensorDescriptorINS_5TupleIJNS_5EmbedINS4_IJiiEEENS4_IJNS_17integral_constantIiLi1EEEiEEELb0EEENS_7UnMergeINS4_IJiNS7_IiLi2EEEEEELb0EEENS_11PassThroughIiEEEEENS4_IJNS_8SequenceIJLi0EEEENSI_IJLi2EEEENSI_IJLi1EEEEEEENS4_IJNSI_IJLi1ELi2EEEENSI_IJLi3ELi4EEEENSI_IJLi5EEEEEEENSI_IJLi3ELi5ELi4EEEElEENS3_INS4_IJNS5_IS6_NS4_IJiS8_EEELb0EEESE_SG_EEENS4_IJSJ_SL_SK_EEESQ_SR_lEENS3_INS4_IJSU_SG_SG_EEESW_NS4_IJSN_NSI_IJLi3EEEENSI_IJLi4EEEEEEESO_lEELi128ELi128ELi16ELi2ELi4ELi4ELi1ENSI_IJLi8ELi2EEEES13_NSI_IJLi2ELi1ELi4ELi2EEEENSI_IJLi8ELi1ELi32ELi1EEEENSI_IJLi0ELi3ELi1ELi2EEEES16_NSI_IJLi1ELi1ELi4ELi1EEEES16_NSI_IJLi1ELi1ELi4ELi2EEEES14_S15_S16_S16_S17_S16_S18_NSI_IJLi0ELi1ELi2ELi3ELi4ELi5EEEELi5ELi4EEEDF16_DF16_NS3_INS4_IJSA_SE_SG_SG_NSB_INS4_IJiNS7_IiLi128EEEEEELb0EEENSF_ISC_EEEEENS4_IJSJ_SK_SL_SZ_SP_S10_EEENS4_IJSN_SO_SP_NSI_IJLi6EEEENSI_IJLi7ELi8EEEENSI_IJLi9EEEEEEENSI_IJLi6ELi7ELi8ELi9EEEElEENS3_INS4_IJSU_SE_SG_SG_S1D_S1E_EEENS4_IJSJ_SL_SK_SZ_SP_S10_EEES1K_S1L_lEENS3_INS4_IJSU_SG_SG_NSB_INS4_IJiSC_NS7_IiLi64EEEEEELb0EEES1S_EEENS4_IJSJ_SL_SK_SZ_S10_EEENS4_IJSN_SZ_S10_NSI_IJLi5ELi6ELi7EEEENSI_IJLi8ELi9ELi10EEEEEEENSI_IJLi5ELi6ELi7ELi8ELi9ELi10EEEElEENS_31BlockToCTileMap_M00_N00_M01_N01ILi128ELi128ES12_Lb0EEELb1ELb0EEEvPKT0_S24_PT1_T2_T3_T4_T5_
    .private_segment_fixed_size: 0
    .sgpr_count:     42
    .sgpr_spill_count: 0
    .symbol:         _ZN2ck19kernel_gemm_dl_v1r3INS_28GridwiseGemmDl_km_kn_mn_v1r3ILi256EDF16_fDF16_LNS_25InMemoryDataOperationEnumE0ENS_16TensorDescriptorINS_5TupleIJNS_5EmbedINS4_IJiiEEENS4_IJNS_17integral_constantIiLi1EEEiEEELb0EEENS_7UnMergeINS4_IJiNS7_IiLi2EEEEEELb0EEENS_11PassThroughIiEEEEENS4_IJNS_8SequenceIJLi0EEEENSI_IJLi2EEEENSI_IJLi1EEEEEEENS4_IJNSI_IJLi1ELi2EEEENSI_IJLi3ELi4EEEENSI_IJLi5EEEEEEENSI_IJLi3ELi5ELi4EEEElEENS3_INS4_IJNS5_IS6_NS4_IJiS8_EEELb0EEESE_SG_EEENS4_IJSJ_SL_SK_EEESQ_SR_lEENS3_INS4_IJSU_SG_SG_EEESW_NS4_IJSN_NSI_IJLi3EEEENSI_IJLi4EEEEEEESO_lEELi128ELi128ELi16ELi2ELi4ELi4ELi1ENSI_IJLi8ELi2EEEES13_NSI_IJLi2ELi1ELi4ELi2EEEENSI_IJLi8ELi1ELi32ELi1EEEENSI_IJLi0ELi3ELi1ELi2EEEES16_NSI_IJLi1ELi1ELi4ELi1EEEES16_NSI_IJLi1ELi1ELi4ELi2EEEES14_S15_S16_S16_S17_S16_S18_NSI_IJLi0ELi1ELi2ELi3ELi4ELi5EEEELi5ELi4EEEDF16_DF16_NS3_INS4_IJSA_SE_SG_SG_NSB_INS4_IJiNS7_IiLi128EEEEEELb0EEENSF_ISC_EEEEENS4_IJSJ_SK_SL_SZ_SP_S10_EEENS4_IJSN_SO_SP_NSI_IJLi6EEEENSI_IJLi7ELi8EEEENSI_IJLi9EEEEEEENSI_IJLi6ELi7ELi8ELi9EEEElEENS3_INS4_IJSU_SE_SG_SG_S1D_S1E_EEENS4_IJSJ_SL_SK_SZ_SP_S10_EEES1K_S1L_lEENS3_INS4_IJSU_SG_SG_NSB_INS4_IJiSC_NS7_IiLi64EEEEEELb0EEES1S_EEENS4_IJSJ_SL_SK_SZ_S10_EEENS4_IJSN_SZ_S10_NSI_IJLi5ELi6ELi7EEEENSI_IJLi8ELi9ELi10EEEEEEENSI_IJLi5ELi6ELi7ELi8ELi9ELi10EEEElEENS_31BlockToCTileMap_M00_N00_M01_N01ILi128ELi128ES12_Lb0EEELb1ELb0EEEvPKT0_S24_PT1_T2_T3_T4_T5_.kd
    .uniform_work_group_size: 1
    .uses_dynamic_stack: false
    .vgpr_count:     110
    .vgpr_spill_count: 0
    .wavefront_size: 64
  - .agpr_count:     0
    .args:
      - .address_space:  global
        .offset:         0
        .size:           8
        .value_kind:     global_buffer
      - .address_space:  global
        .offset:         8
        .size:           8
        .value_kind:     global_buffer
      - .address_space:  global
        .offset:         16
        .size:           8
        .value_kind:     global_buffer
      - .offset:         24
        .size:           64
        .value_kind:     by_value
      - .offset:         88
        .size:           64
        .value_kind:     by_value
      - .offset:         152
        .size:           64
        .value_kind:     by_value
      - .offset:         216
        .size:           112
        .value_kind:     by_value
    .group_segment_fixed_size: 32768
    .kernarg_segment_align: 8
    .kernarg_segment_size: 328
    .language:       OpenCL C
    .language_version:
      - 2
      - 0
    .max_flat_workgroup_size: 256
    .name:           _ZN2ck19kernel_gemm_dl_v1r3INS_28GridwiseGemmDl_km_kn_mn_v1r3ILi256EDF16_fDF16_LNS_25InMemoryDataOperationEnumE0ENS_16TensorDescriptorINS_5TupleIJNS_5EmbedINS4_IJiiEEENS4_IJNS_17integral_constantIiLi1EEEiEEELb0EEENS_7UnMergeINS4_IJiNS7_IiLi2EEEEEELb0EEENS_11PassThroughIiEEEEENS4_IJNS_8SequenceIJLi0EEEENSI_IJLi2EEEENSI_IJLi1EEEEEEENS4_IJNSI_IJLi1ELi2EEEENSI_IJLi3ELi4EEEENSI_IJLi5EEEEEEENSI_IJLi3ELi5ELi4EEEElEENS3_INS4_IJNS5_IS6_NS4_IJiS8_EEELb0EEESE_SG_EEENS4_IJSJ_SL_SK_EEESQ_SR_lEENS3_INS4_IJSU_SG_SG_EEESW_NS4_IJSN_NSI_IJLi3EEEENSI_IJLi4EEEEEEESO_lEELi128ELi128ELi16ELi2ELi4ELi4ELi1ENSI_IJLi8ELi2EEEES13_NSI_IJLi2ELi1ELi4ELi2EEEENSI_IJLi8ELi1ELi32ELi1EEEENSI_IJLi0ELi3ELi1ELi2EEEES16_NSI_IJLi1ELi1ELi4ELi1EEEES16_NSI_IJLi1ELi1ELi4ELi2EEEES14_S15_S16_S16_S17_S16_S18_NSI_IJLi0ELi1ELi2ELi3ELi4ELi5EEEELi5ELi4EEEDF16_DF16_NS3_INS4_IJSA_SE_SG_SG_NSB_INS4_IJiNS7_IiLi128EEEEEELb0EEENSF_ISC_EEEEENS4_IJSJ_SK_SL_SZ_SP_S10_EEENS4_IJSN_SO_SP_NSI_IJLi6EEEENSI_IJLi7ELi8EEEENSI_IJLi9EEEEEEENSI_IJLi6ELi7ELi8ELi9EEEElEENS3_INS4_IJSU_SE_SG_SG_S1D_S1E_EEENS4_IJSJ_SL_SK_SZ_SP_S10_EEES1K_S1L_lEENS3_INS4_IJSU_SG_SG_NSB_INS4_IJiSC_NS7_IiLi64EEEEEELb0EEES1S_EEENS4_IJSJ_SL_SK_SZ_S10_EEENS4_IJSN_SZ_S10_NSI_IJLi5ELi6ELi7EEEENSI_IJLi8ELi9ELi10EEEEEEENSI_IJLi5ELi6ELi7ELi8ELi9ELi10EEEElEENS_31BlockToCTileMap_M00_N00_M01_N01ILi128ELi128ES12_Lb0EEELb0ELb1EEEvPKT0_S24_PT1_T2_T3_T4_T5_
    .private_segment_fixed_size: 0
    .sgpr_count:     33
    .sgpr_spill_count: 0
    .symbol:         _ZN2ck19kernel_gemm_dl_v1r3INS_28GridwiseGemmDl_km_kn_mn_v1r3ILi256EDF16_fDF16_LNS_25InMemoryDataOperationEnumE0ENS_16TensorDescriptorINS_5TupleIJNS_5EmbedINS4_IJiiEEENS4_IJNS_17integral_constantIiLi1EEEiEEELb0EEENS_7UnMergeINS4_IJiNS7_IiLi2EEEEEELb0EEENS_11PassThroughIiEEEEENS4_IJNS_8SequenceIJLi0EEEENSI_IJLi2EEEENSI_IJLi1EEEEEEENS4_IJNSI_IJLi1ELi2EEEENSI_IJLi3ELi4EEEENSI_IJLi5EEEEEEENSI_IJLi3ELi5ELi4EEEElEENS3_INS4_IJNS5_IS6_NS4_IJiS8_EEELb0EEESE_SG_EEENS4_IJSJ_SL_SK_EEESQ_SR_lEENS3_INS4_IJSU_SG_SG_EEESW_NS4_IJSN_NSI_IJLi3EEEENSI_IJLi4EEEEEEESO_lEELi128ELi128ELi16ELi2ELi4ELi4ELi1ENSI_IJLi8ELi2EEEES13_NSI_IJLi2ELi1ELi4ELi2EEEENSI_IJLi8ELi1ELi32ELi1EEEENSI_IJLi0ELi3ELi1ELi2EEEES16_NSI_IJLi1ELi1ELi4ELi1EEEES16_NSI_IJLi1ELi1ELi4ELi2EEEES14_S15_S16_S16_S17_S16_S18_NSI_IJLi0ELi1ELi2ELi3ELi4ELi5EEEELi5ELi4EEEDF16_DF16_NS3_INS4_IJSA_SE_SG_SG_NSB_INS4_IJiNS7_IiLi128EEEEEELb0EEENSF_ISC_EEEEENS4_IJSJ_SK_SL_SZ_SP_S10_EEENS4_IJSN_SO_SP_NSI_IJLi6EEEENSI_IJLi7ELi8EEEENSI_IJLi9EEEEEEENSI_IJLi6ELi7ELi8ELi9EEEElEENS3_INS4_IJSU_SE_SG_SG_S1D_S1E_EEENS4_IJSJ_SL_SK_SZ_SP_S10_EEES1K_S1L_lEENS3_INS4_IJSU_SG_SG_NSB_INS4_IJiSC_NS7_IiLi64EEEEEELb0EEES1S_EEENS4_IJSJ_SL_SK_SZ_S10_EEENS4_IJSN_SZ_S10_NSI_IJLi5ELi6ELi7EEEENSI_IJLi8ELi9ELi10EEEEEEENSI_IJLi5ELi6ELi7ELi8ELi9ELi10EEEElEENS_31BlockToCTileMap_M00_N00_M01_N01ILi128ELi128ES12_Lb0EEELb0ELb1EEEvPKT0_S24_PT1_T2_T3_T4_T5_.kd
    .uniform_work_group_size: 1
    .uses_dynamic_stack: false
    .vgpr_count:     102
    .vgpr_spill_count: 0
    .wavefront_size: 64
  - .agpr_count:     0
    .args:
      - .address_space:  global
        .offset:         0
        .size:           8
        .value_kind:     global_buffer
      - .address_space:  global
        .offset:         8
        .size:           8
        .value_kind:     global_buffer
      - .address_space:  global
        .offset:         16
        .size:           8
        .value_kind:     global_buffer
      - .offset:         24
        .size:           64
        .value_kind:     by_value
      - .offset:         88
        .size:           64
        .value_kind:     by_value
      - .offset:         152
        .size:           64
        .value_kind:     by_value
      - .offset:         216
        .size:           112
        .value_kind:     by_value
    .group_segment_fixed_size: 32768
    .kernarg_segment_align: 8
    .kernarg_segment_size: 328
    .language:       OpenCL C
    .language_version:
      - 2
      - 0
    .max_flat_workgroup_size: 256
    .name:           _ZN2ck19kernel_gemm_dl_v1r3INS_28GridwiseGemmDl_km_kn_mn_v1r3ILi256EDF16_fDF16_LNS_25InMemoryDataOperationEnumE0ENS_16TensorDescriptorINS_5TupleIJNS_5EmbedINS4_IJiiEEENS4_IJNS_17integral_constantIiLi1EEEiEEELb0EEENS_7UnMergeINS4_IJiNS7_IiLi2EEEEEELb0EEENS_11PassThroughIiEEEEENS4_IJNS_8SequenceIJLi0EEEENSI_IJLi2EEEENSI_IJLi1EEEEEEENS4_IJNSI_IJLi1ELi2EEEENSI_IJLi3ELi4EEEENSI_IJLi5EEEEEEENSI_IJLi3ELi5ELi4EEEElEENS3_INS4_IJNS5_IS6_NS4_IJiS8_EEELb0EEESE_SG_EEENS4_IJSJ_SL_SK_EEESQ_SR_lEENS3_INS4_IJSU_SG_SG_EEESW_NS4_IJSN_NSI_IJLi3EEEENSI_IJLi4EEEEEEESO_lEELi128ELi128ELi16ELi2ELi4ELi4ELi1ENSI_IJLi8ELi2EEEES13_NSI_IJLi2ELi1ELi4ELi2EEEENSI_IJLi8ELi1ELi32ELi1EEEENSI_IJLi0ELi3ELi1ELi2EEEES16_NSI_IJLi1ELi1ELi4ELi1EEEES16_NSI_IJLi1ELi1ELi4ELi2EEEES14_S15_S16_S16_S17_S16_S18_NSI_IJLi0ELi1ELi2ELi3ELi4ELi5EEEELi5ELi4EEEDF16_DF16_NS3_INS4_IJSA_SE_SG_SG_NSB_INS4_IJiNS7_IiLi128EEEEEELb0EEENSF_ISC_EEEEENS4_IJSJ_SK_SL_SZ_SP_S10_EEENS4_IJSN_SO_SP_NSI_IJLi6EEEENSI_IJLi7ELi8EEEENSI_IJLi9EEEEEEENSI_IJLi6ELi7ELi8ELi9EEEElEENS3_INS4_IJSU_SE_SG_SG_S1D_S1E_EEENS4_IJSJ_SL_SK_SZ_SP_S10_EEES1K_S1L_lEENS3_INS4_IJSU_SG_SG_NSB_INS4_IJiSC_NS7_IiLi64EEEEEELb0EEES1S_EEENS4_IJSJ_SL_SK_SZ_S10_EEENS4_IJSN_SZ_S10_NSI_IJLi5ELi6ELi7EEEENSI_IJLi8ELi9ELi10EEEEEEENSI_IJLi5ELi6ELi7ELi8ELi9ELi10EEEElEENS_31BlockToCTileMap_M00_N00_M01_N01ILi128ELi128ES12_Lb0EEELb0ELb0EEEvPKT0_S24_PT1_T2_T3_T4_T5_
    .private_segment_fixed_size: 0
    .sgpr_count:     33
    .sgpr_spill_count: 0
    .symbol:         _ZN2ck19kernel_gemm_dl_v1r3INS_28GridwiseGemmDl_km_kn_mn_v1r3ILi256EDF16_fDF16_LNS_25InMemoryDataOperationEnumE0ENS_16TensorDescriptorINS_5TupleIJNS_5EmbedINS4_IJiiEEENS4_IJNS_17integral_constantIiLi1EEEiEEELb0EEENS_7UnMergeINS4_IJiNS7_IiLi2EEEEEELb0EEENS_11PassThroughIiEEEEENS4_IJNS_8SequenceIJLi0EEEENSI_IJLi2EEEENSI_IJLi1EEEEEEENS4_IJNSI_IJLi1ELi2EEEENSI_IJLi3ELi4EEEENSI_IJLi5EEEEEEENSI_IJLi3ELi5ELi4EEEElEENS3_INS4_IJNS5_IS6_NS4_IJiS8_EEELb0EEESE_SG_EEENS4_IJSJ_SL_SK_EEESQ_SR_lEENS3_INS4_IJSU_SG_SG_EEESW_NS4_IJSN_NSI_IJLi3EEEENSI_IJLi4EEEEEEESO_lEELi128ELi128ELi16ELi2ELi4ELi4ELi1ENSI_IJLi8ELi2EEEES13_NSI_IJLi2ELi1ELi4ELi2EEEENSI_IJLi8ELi1ELi32ELi1EEEENSI_IJLi0ELi3ELi1ELi2EEEES16_NSI_IJLi1ELi1ELi4ELi1EEEES16_NSI_IJLi1ELi1ELi4ELi2EEEES14_S15_S16_S16_S17_S16_S18_NSI_IJLi0ELi1ELi2ELi3ELi4ELi5EEEELi5ELi4EEEDF16_DF16_NS3_INS4_IJSA_SE_SG_SG_NSB_INS4_IJiNS7_IiLi128EEEEEELb0EEENSF_ISC_EEEEENS4_IJSJ_SK_SL_SZ_SP_S10_EEENS4_IJSN_SO_SP_NSI_IJLi6EEEENSI_IJLi7ELi8EEEENSI_IJLi9EEEEEEENSI_IJLi6ELi7ELi8ELi9EEEElEENS3_INS4_IJSU_SE_SG_SG_S1D_S1E_EEENS4_IJSJ_SL_SK_SZ_SP_S10_EEES1K_S1L_lEENS3_INS4_IJSU_SG_SG_NSB_INS4_IJiSC_NS7_IiLi64EEEEEELb0EEES1S_EEENS4_IJSJ_SL_SK_SZ_S10_EEENS4_IJSN_SZ_S10_NSI_IJLi5ELi6ELi7EEEENSI_IJLi8ELi9ELi10EEEEEEENSI_IJLi5ELi6ELi7ELi8ELi9ELi10EEEElEENS_31BlockToCTileMap_M00_N00_M01_N01ILi128ELi128ES12_Lb0EEELb0ELb0EEEvPKT0_S24_PT1_T2_T3_T4_T5_.kd
    .uniform_work_group_size: 1
    .uses_dynamic_stack: false
    .vgpr_count:     84
    .vgpr_spill_count: 0
    .wavefront_size: 64
  - .agpr_count:     0
    .args:
      - .actual_access:  read_only
        .address_space:  global
        .offset:         0
        .size:           8
        .value_kind:     global_buffer
      - .actual_access:  read_only
        .address_space:  global
        .offset:         8
        .size:           8
        .value_kind:     global_buffer
      - .actual_access:  write_only
        .address_space:  global
        .offset:         16
        .size:           8
        .value_kind:     global_buffer
      - .offset:         24
        .size:           4
        .value_kind:     by_value
      - .offset:         28
        .size:           4
        .value_kind:     by_value
      - .offset:         32
        .size:           4
        .value_kind:     by_value
      - .offset:         36
        .size:           1
        .value_kind:     by_value
      - .offset:         37
        .size:           1
        .value_kind:     by_value
      - .offset:         38
        .size:           1
        .value_kind:     by_value
      - .offset:         40
        .size:           4
        .value_kind:     hidden_block_count_x
      - .offset:         44
        .size:           4
        .value_kind:     hidden_block_count_y
      - .offset:         48
        .size:           4
        .value_kind:     hidden_block_count_z
      - .offset:         52
        .size:           2
        .value_kind:     hidden_group_size_x
      - .offset:         54
        .size:           2
        .value_kind:     hidden_group_size_y
      - .offset:         56
        .size:           2
        .value_kind:     hidden_group_size_z
      - .offset:         58
        .size:           2
        .value_kind:     hidden_remainder_x
      - .offset:         60
        .size:           2
        .value_kind:     hidden_remainder_y
      - .offset:         62
        .size:           2
        .value_kind:     hidden_remainder_z
      - .offset:         80
        .size:           8
        .value_kind:     hidden_global_offset_x
      - .offset:         88
        .size:           8
        .value_kind:     hidden_global_offset_y
      - .offset:         96
        .size:           8
        .value_kind:     hidden_global_offset_z
      - .offset:         104
        .size:           2
        .value_kind:     hidden_grid_dims
    .group_segment_fixed_size: 0
    .kernarg_segment_align: 8
    .kernarg_segment_size: 296
    .language:       OpenCL C
    .language_version:
      - 2
      - 0
    .max_flat_workgroup_size: 256
    .name:           _ZN2ck17naive_gemm_kernelINS_13tensor_layout4gemm11ColumnMajorENS2_8RowMajorES4_DF16_DF16_DF16_fNS_16tensor_operation12element_wise11PassThroughES7_S7_DF16_DF16_EEvPKT2_PKT3_PT4_iiiT6_T7_T8_
    .private_segment_fixed_size: 0
    .sgpr_count:     16
    .sgpr_spill_count: 0
    .symbol:         _ZN2ck17naive_gemm_kernelINS_13tensor_layout4gemm11ColumnMajorENS2_8RowMajorES4_DF16_DF16_DF16_fNS_16tensor_operation12element_wise11PassThroughES7_S7_DF16_DF16_EEvPKT2_PKT3_PT4_iiiT6_T7_T8_.kd
    .uniform_work_group_size: 1
    .uses_dynamic_stack: false
    .vgpr_count:     12
    .vgpr_spill_count: 0
    .wavefront_size: 64
amdhsa.target:   amdgcn-amd-amdhsa--gfx90a
amdhsa.version:
  - 1
  - 2
...

	.end_amdgpu_metadata
